;; amdgpu-corpus repo=ROCm/rocFFT kind=compiled arch=gfx950 opt=O3
	.text
	.amdgcn_target "amdgcn-amd-amdhsa--gfx950"
	.amdhsa_code_object_version 6
	.protected	bluestein_single_fwd_len896_dim1_sp_op_CI_CI ; -- Begin function bluestein_single_fwd_len896_dim1_sp_op_CI_CI
	.globl	bluestein_single_fwd_len896_dim1_sp_op_CI_CI
	.p2align	8
	.type	bluestein_single_fwd_len896_dim1_sp_op_CI_CI,@function
bluestein_single_fwd_len896_dim1_sp_op_CI_CI: ; @bluestein_single_fwd_len896_dim1_sp_op_CI_CI
; %bb.0:
	s_load_dwordx4 s[12:15], s[0:1], 0x28
	v_mul_u32_u24_e32 v1, 0x24a, v0
	v_mov_b32_e32 v51, 0
	v_add_u32_sdwa v58, s2, v1 dst_sel:DWORD dst_unused:UNUSED_PAD src0_sel:DWORD src1_sel:WORD_1
	v_mov_b32_e32 v59, v51
	s_waitcnt lgkmcnt(0)
	v_cmp_gt_u64_e32 vcc, s[12:13], v[58:59]
	s_and_saveexec_b64 s[2:3], vcc
	s_cbranch_execz .LBB0_10
; %bb.1:
	s_load_dwordx4 s[4:7], s[0:1], 0x18
	s_load_dwordx4 s[8:11], s[0:1], 0x0
	v_mov_b32_e32 v2, s14
	v_mov_b32_e32 v3, s15
	s_movk_i32 s2, 0x70
	s_waitcnt lgkmcnt(0)
	s_load_dwordx4 s[12:15], s[4:5], 0x0
	v_mul_lo_u16_sdwa v1, v1, s2 dst_sel:DWORD dst_unused:UNUSED_PAD src0_sel:WORD_1 src1_sel:DWORD
	v_sub_u16_e32 v50, v0, v1
	v_mov_b32_e32 v18, 0xe00
	v_mov_b32_e32 v16, 0xfffff580
	s_waitcnt lgkmcnt(0)
	v_mad_u64_u32 v[0:1], s[2:3], s14, v58, 0
	v_mov_b32_e32 v4, v1
	v_mad_u64_u32 v[4:5], s[2:3], s15, v58, v[4:5]
	v_mov_b32_e32 v1, v4
	v_mad_u64_u32 v[4:5], s[2:3], s12, v50, 0
	v_mov_b32_e32 v6, v5
	v_mad_u64_u32 v[6:7], s[2:3], s13, v50, v[6:7]
	v_mov_b32_e32 v5, v6
	v_lshl_add_u64 v[0:1], v[0:1], 3, v[2:3]
	v_lshl_add_u64 v[0:1], v[4:5], 3, v[0:1]
	global_load_dwordx2 v[4:5], v[0:1], off
	v_mad_u64_u32 v[0:1], s[2:3], s12, v18, v[0:1]
	s_mul_i32 s4, s13, 0xe00
	v_add_u32_e32 v1, s4, v1
	v_mad_u64_u32 v[6:7], s[2:3], s12, v16, v[0:1]
	s_mul_i32 s2, s13, 0xfffff580
	s_sub_i32 s5, s2, s12
	v_lshlrev_b32_e32 v48, 3, v50
	v_add_u32_e32 v7, s5, v7
	v_mov_b32_e32 v49, v51
	global_load_dwordx2 v[68:69], v48, s[8:9]
	global_load_dwordx2 v[64:65], v48, s[8:9] offset:3584
	global_load_dwordx2 v[8:9], v[0:1], off
	global_load_dwordx2 v[10:11], v[6:7], off
	global_load_dwordx2 v[66:67], v48, s[8:9] offset:896
	v_mad_u64_u32 v[0:1], s[2:3], s12, v18, v[6:7]
	v_lshl_add_u64 v[2:3], s[8:9], 0, v[48:49]
	v_add_u32_e32 v1, s4, v1
	s_movk_i32 s2, 0x1000
	v_add_co_u32_e32 v2, vcc, s2, v2
	v_mad_u64_u32 v[6:7], s[2:3], s12, v16, v[0:1]
	s_nop 0
	v_addc_co_u32_e32 v3, vcc, 0, v3, vcc
	v_add_u32_e32 v7, s5, v7
	global_load_dwordx2 v[62:63], v[2:3], off offset:384
	v_lshlrev_b32_e32 v49, 4, v50
	global_load_dwordx2 v[0:1], v[0:1], off
	s_nop 0
	global_load_dwordx2 v[12:13], v[6:7], off
	global_load_dwordx2 v[60:61], v48, s[8:9] offset:1792
	v_mad_u64_u32 v[6:7], s[2:3], s12, v18, v[6:7]
	v_add_u32_e32 v7, s4, v7
	global_load_dwordx2 v[14:15], v[6:7], off
	global_load_dwordx2 v[56:57], v[2:3], off offset:1280
	v_mad_u64_u32 v[6:7], s[2:3], s12, v16, v[6:7]
	v_add_u32_e32 v7, s5, v7
	global_load_dwordx2 v[16:17], v[6:7], off
	global_load_dwordx2 v[54:55], v48, s[8:9] offset:2688
	v_mad_u64_u32 v[6:7], s[2:3], s12, v18, v[6:7]
	v_add_u32_e32 v7, s4, v7
	global_load_dwordx2 v[52:53], v[2:3], off offset:2176
	global_load_dwordx2 v[18:19], v[6:7], off
	v_add_u32_e32 v3, 0x1000, v48
	v_add_u32_e32 v2, 0x400, v48
	s_mov_b64 s[2:3], 0x70
	s_load_dwordx4 s[4:7], s[6:7], 0x0
	v_add_u32_e32 v83, 0xe0, v50
	v_add_u32_e32 v85, 0x150, v50
	s_movk_i32 s12, 0x3fc
	v_and_b32_e32 v34, 3, v50
	v_lshlrev_b32_e32 v35, 3, v34
	v_and_b32_e32 v38, 63, v83
	s_movk_i32 s14, 0x380
                                        ; implicit-def: $vgpr100
                                        ; implicit-def: $vgpr102
                                        ; implicit-def: $vgpr96
                                        ; implicit-def: $vgpr104
                                        ; implicit-def: $vgpr110
                                        ; implicit-def: $vgpr112
                                        ; implicit-def: $vgpr114
                                        ; implicit-def: $vgpr42
                                        ; implicit-def: $vgpr46
	s_waitcnt vmcnt(14)
	v_mul_f32_e32 v6, v5, v69
	v_mul_f32_e32 v7, v4, v69
	v_fmac_f32_e32 v6, v4, v68
	v_fma_f32 v7, v5, v68, -v7
	s_waitcnt vmcnt(12)
	v_mul_f32_e32 v4, v9, v65
	v_mul_f32_e32 v5, v8, v65
	v_fmac_f32_e32 v4, v8, v64
	v_fma_f32 v5, v9, v64, -v5
	ds_write_b64 v48, v[4:5] offset:3584
	s_waitcnt vmcnt(10)
	v_mul_f32_e32 v4, v11, v67
	v_mul_f32_e32 v5, v10, v67
	v_fmac_f32_e32 v4, v10, v66
	v_fma_f32 v5, v11, v66, -v5
	ds_write2_b64 v48, v[6:7], v[4:5] offset1:112
	s_waitcnt vmcnt(8)
	v_mul_f32_e32 v4, v1, v63
	v_mul_f32_e32 v5, v0, v63
	v_fmac_f32_e32 v4, v0, v62
	v_fma_f32 v5, v1, v62, -v5
	s_waitcnt vmcnt(6)
	v_mul_f32_e32 v0, v13, v61
	s_waitcnt vmcnt(4)
	v_mul_f32_e32 v6, v15, v57
	v_mul_f32_e32 v7, v14, v57
	v_fmac_f32_e32 v6, v14, v56
	v_fma_f32 v7, v15, v56, -v7
	v_mul_f32_e32 v1, v12, v61
	ds_write2_b64 v3, v[4:5], v[6:7] offset0:48 offset1:160
	s_waitcnt vmcnt(2)
	v_mul_f32_e32 v4, v17, v55
	v_mul_f32_e32 v3, v16, v55
	v_fmac_f32_e32 v0, v12, v60
	v_fma_f32 v1, v13, v60, -v1
	v_fmac_f32_e32 v4, v16, v54
	v_fma_f32 v5, v17, v54, -v3
	ds_write2_b64 v2, v[0:1], v[4:5] offset0:96 offset1:208
	s_waitcnt vmcnt(0)
	v_mul_f32_e32 v0, v19, v53
	v_mul_f32_e32 v1, v18, v53
	v_fmac_f32_e32 v0, v18, v52
	v_fma_f32 v1, v19, v52, -v1
	ds_write_b64 v48, v[0:1] offset:6272
	v_add_u32_e32 v3, 0xc00, v48
	v_lshl_add_u64 v[0:1], v[50:51], 0, s[2:3]
	s_waitcnt lgkmcnt(0)
	s_barrier
	ds_read2_b64 v[4:7], v48 offset1:112
	ds_read2_b64 v[8:11], v3 offset0:64 offset1:176
	v_add_u32_e32 v1, 0x1400, v48
	ds_read2_b64 v[16:19], v2 offset0:96 offset1:208
	ds_read2_b64 v[20:23], v1 offset0:32 offset1:144
	v_lshlrev_b32_e32 v51, 4, v0
	s_waitcnt lgkmcnt(2)
	v_pk_add_f32 v[14:15], v[4:5], v[8:9] neg_lo:[0,1] neg_hi:[0,1]
	v_pk_add_f32 v[8:9], v[6:7], v[10:11] neg_lo:[0,1] neg_hi:[0,1]
	v_pk_fma_f32 v[12:13], v[4:5], 2.0, v[14:15] op_sel_hi:[1,0,1] neg_lo:[0,0,1] neg_hi:[0,0,1]
	s_waitcnt lgkmcnt(0)
	v_pk_add_f32 v[26:27], v[16:17], v[20:21] neg_lo:[0,1] neg_hi:[0,1]
	v_pk_add_f32 v[20:21], v[18:19], v[22:23] neg_lo:[0,1] neg_hi:[0,1]
	v_pk_fma_f32 v[6:7], v[6:7], 2.0, v[8:9] op_sel_hi:[1,0,1] neg_lo:[0,0,1] neg_hi:[0,0,1]
	v_pk_fma_f32 v[24:25], v[16:17], 2.0, v[26:27] op_sel_hi:[1,0,1] neg_lo:[0,0,1] neg_hi:[0,0,1]
	;; [unrolled: 1-line block ×3, first 2 shown]
	s_barrier
	ds_write_b128 v49, v[12:15]
	ds_write_b128 v51, v[6:9]
	ds_write_b128 v49, v[24:27] offset:3584
	ds_write_b128 v49, v[18:21] offset:5376
	v_and_b32_e32 v8, 1, v50
	v_lshlrev_b32_e32 v4, 3, v8
	s_waitcnt lgkmcnt(0)
	s_barrier
	global_load_dwordx2 v[70:71], v4, s[10:11]
	s_movk_i32 s2, 0xfc
	v_lshlrev_b32_e32 v4, 1, v50
	s_movk_i32 s3, 0x1fc
	v_lshlrev_b32_e32 v5, 1, v0
	v_lshlrev_b32_e32 v6, 1, v83
	;; [unrolled: 1-line block ×3, first 2 shown]
	v_and_or_b32 v9, v4, s2, v8
	v_lshlrev_b32_e32 v59, 3, v9
	v_and_or_b32 v9, v5, s3, v8
	v_and_or_b32 v10, v6, s12, v8
	;; [unrolled: 1-line block ×3, first 2 shown]
	v_lshlrev_b32_e32 v115, 3, v9
	v_lshlrev_b32_e32 v116, 3, v10
	;; [unrolled: 1-line block ×3, first 2 shown]
	ds_read2_b64 v[8:11], v1 offset0:32 offset1:144
	ds_read2_b64 v[12:15], v3 offset0:64 offset1:176
	;; [unrolled: 1-line block ×3, first 2 shown]
	ds_read2_b64 v[20:23], v48 offset1:112
	s_waitcnt lgkmcnt(0)
	s_barrier
	s_movk_i32 s2, 0xf8
	s_movk_i32 s3, 0x1f8
	;; [unrolled: 1-line block ×3, first 2 shown]
	v_and_b32_e32 v39, 63, v0
	v_lshlrev_b32_e32 v41, 3, v39
	s_waitcnt vmcnt(0)
	v_pk_mul_f32 v[24:25], v[10:11], v[70:71] op_sel:[0,1]
	v_pk_mul_f32 v[26:27], v[8:9], v[70:71] op_sel:[0,1]
	;; [unrolled: 1-line block ×4, first 2 shown]
	v_pk_fma_f32 v[32:33], v[10:11], v[70:71], v[24:25] op_sel:[0,0,1] op_sel_hi:[1,1,0] neg_lo:[0,0,1] neg_hi:[0,0,1]
	v_pk_fma_f32 v[10:11], v[10:11], v[70:71], v[24:25] op_sel:[0,0,1] op_sel_hi:[1,0,0]
	v_pk_fma_f32 v[24:25], v[8:9], v[70:71], v[26:27] op_sel:[0,0,1] op_sel_hi:[1,1,0] neg_lo:[0,0,1] neg_hi:[0,0,1]
	v_pk_fma_f32 v[8:9], v[8:9], v[70:71], v[26:27] op_sel:[0,0,1] op_sel_hi:[1,0,0]
	;; [unrolled: 2-line block ×4, first 2 shown]
	v_mov_b32_e32 v33, v11
	v_mov_b32_e32 v29, v13
	;; [unrolled: 1-line block ×4, first 2 shown]
	v_pk_add_f32 v[14:15], v[20:21], v[28:29] neg_lo:[0,1] neg_hi:[0,1]
	v_pk_add_f32 v[8:9], v[18:19], v[32:33] neg_lo:[0,1] neg_hi:[0,1]
	;; [unrolled: 1-line block ×4, first 2 shown]
	v_pk_fma_f32 v[20:21], v[20:21], 2.0, v[14:15] op_sel_hi:[1,0,1] neg_lo:[0,0,1] neg_hi:[0,0,1]
	v_pk_fma_f32 v[18:19], v[18:19], 2.0, v[8:9] op_sel_hi:[1,0,1] neg_lo:[0,0,1] neg_hi:[0,0,1]
	;; [unrolled: 1-line block ×4, first 2 shown]
	ds_write2_b64 v59, v[20:21], v[14:15] offset1:2
	ds_write2_b64 v115, v[22:23], v[12:13] offset1:2
	;; [unrolled: 1-line block ×4, first 2 shown]
	s_waitcnt lgkmcnt(0)
	s_barrier
	global_load_dwordx2 v[72:73], v35, s[10:11] offset:16
	v_and_or_b32 v8, v4, s2, v34
	v_lshlrev_b32_e32 v118, 3, v8
	v_and_or_b32 v8, v5, s3, v34
	v_and_or_b32 v9, v6, s12, v34
	;; [unrolled: 1-line block ×3, first 2 shown]
	v_lshlrev_b32_e32 v119, 3, v8
	v_lshlrev_b32_e32 v120, 3, v9
	v_lshlrev_b32_e32 v121, 3, v10
	ds_read2_b64 v[8:11], v1 offset0:32 offset1:144
	ds_read2_b64 v[12:15], v3 offset0:64 offset1:176
	ds_read2_b64 v[16:19], v48 offset1:112
	ds_read2_b64 v[20:23], v2 offset0:96 offset1:208
	v_and_b32_e32 v35, 7, v50
	v_lshlrev_b32_e32 v36, 3, v35
	s_waitcnt lgkmcnt(0)
	s_barrier
	s_movk_i32 s2, 0xf0
	s_movk_i32 s3, 0x1f0
	;; [unrolled: 1-line block ×3, first 2 shown]
	v_and_b32_e32 v34, 15, v50
	s_waitcnt vmcnt(0)
	v_pk_mul_f32 v[24:25], v[10:11], v[72:73] op_sel:[0,1]
	v_pk_mul_f32 v[26:27], v[8:9], v[72:73] op_sel:[0,1]
	;; [unrolled: 1-line block ×4, first 2 shown]
	v_pk_fma_f32 v[32:33], v[10:11], v[72:73], v[24:25] op_sel:[0,0,1] op_sel_hi:[1,1,0] neg_lo:[0,0,1] neg_hi:[0,0,1]
	v_pk_fma_f32 v[10:11], v[10:11], v[72:73], v[24:25] op_sel:[0,0,1] op_sel_hi:[1,0,0]
	v_pk_fma_f32 v[24:25], v[8:9], v[72:73], v[26:27] op_sel:[0,0,1] op_sel_hi:[1,1,0] neg_lo:[0,0,1] neg_hi:[0,0,1]
	v_pk_fma_f32 v[8:9], v[8:9], v[72:73], v[26:27] op_sel:[0,0,1] op_sel_hi:[1,0,0]
	;; [unrolled: 2-line block ×4, first 2 shown]
	v_mov_b32_e32 v27, v15
	v_mov_b32_e32 v29, v13
	;; [unrolled: 1-line block ×4, first 2 shown]
	v_pk_add_f32 v[8:9], v[16:17], v[28:29] neg_lo:[0,1] neg_hi:[0,1]
	v_pk_add_f32 v[10:11], v[18:19], v[26:27] neg_lo:[0,1] neg_hi:[0,1]
	;; [unrolled: 1-line block ×4, first 2 shown]
	v_pk_fma_f32 v[16:17], v[16:17], 2.0, v[8:9] op_sel_hi:[1,0,1] neg_lo:[0,0,1] neg_hi:[0,0,1]
	v_pk_fma_f32 v[18:19], v[18:19], 2.0, v[10:11] op_sel_hi:[1,0,1] neg_lo:[0,0,1] neg_hi:[0,0,1]
	v_pk_fma_f32 v[22:23], v[22:23], 2.0, v[12:13] op_sel_hi:[1,0,1] neg_lo:[0,0,1] neg_hi:[0,0,1]
	v_pk_fma_f32 v[20:21], v[20:21], 2.0, v[14:15] op_sel_hi:[1,0,1] neg_lo:[0,0,1] neg_hi:[0,0,1]
	ds_write2_b64 v118, v[16:17], v[8:9] offset1:4
	ds_write2_b64 v119, v[18:19], v[10:11] offset1:4
	;; [unrolled: 1-line block ×4, first 2 shown]
	s_waitcnt lgkmcnt(0)
	s_barrier
	global_load_dwordx2 v[74:75], v36, s[10:11] offset:48
	v_and_or_b32 v8, v4, s2, v35
	v_lshlrev_b32_e32 v122, 3, v8
	v_and_or_b32 v8, v5, s3, v35
	v_and_or_b32 v9, v6, s12, v35
	;; [unrolled: 1-line block ×3, first 2 shown]
	v_lshlrev_b32_e32 v123, 3, v8
	v_lshlrev_b32_e32 v124, 3, v9
	;; [unrolled: 1-line block ×3, first 2 shown]
	ds_read2_b64 v[8:11], v1 offset0:32 offset1:144
	ds_read2_b64 v[12:15], v3 offset0:64 offset1:176
	ds_read2_b64 v[16:19], v48 offset1:112
	ds_read2_b64 v[20:23], v2 offset0:96 offset1:208
	v_lshlrev_b32_e32 v36, 3, v34
	s_waitcnt lgkmcnt(0)
	s_barrier
	s_movk_i32 s2, 0xe0
	s_movk_i32 s3, 0x1e0
	;; [unrolled: 1-line block ×3, first 2 shown]
	v_and_b32_e32 v35, 31, v50
	v_lshlrev_b32_e32 v37, 3, v35
	s_waitcnt vmcnt(0)
	v_pk_mul_f32 v[24:25], v[10:11], v[74:75] op_sel:[0,1]
	v_pk_mul_f32 v[26:27], v[8:9], v[74:75] op_sel:[0,1]
	;; [unrolled: 1-line block ×4, first 2 shown]
	v_pk_fma_f32 v[32:33], v[10:11], v[74:75], v[24:25] op_sel:[0,0,1] op_sel_hi:[1,1,0] neg_lo:[0,0,1] neg_hi:[0,0,1]
	v_pk_fma_f32 v[10:11], v[10:11], v[74:75], v[24:25] op_sel:[0,0,1] op_sel_hi:[1,0,0]
	v_pk_fma_f32 v[24:25], v[8:9], v[74:75], v[26:27] op_sel:[0,0,1] op_sel_hi:[1,1,0] neg_lo:[0,0,1] neg_hi:[0,0,1]
	v_pk_fma_f32 v[8:9], v[8:9], v[74:75], v[26:27] op_sel:[0,0,1] op_sel_hi:[1,0,0]
	;; [unrolled: 2-line block ×4, first 2 shown]
	v_mov_b32_e32 v27, v15
	v_mov_b32_e32 v29, v13
	;; [unrolled: 1-line block ×4, first 2 shown]
	v_pk_add_f32 v[8:9], v[16:17], v[28:29] neg_lo:[0,1] neg_hi:[0,1]
	v_pk_add_f32 v[10:11], v[18:19], v[26:27] neg_lo:[0,1] neg_hi:[0,1]
	v_pk_add_f32 v[12:13], v[20:21], v[24:25] neg_lo:[0,1] neg_hi:[0,1]
	v_pk_add_f32 v[14:15], v[22:23], v[32:33] neg_lo:[0,1] neg_hi:[0,1]
	v_pk_fma_f32 v[16:17], v[16:17], 2.0, v[8:9] op_sel_hi:[1,0,1] neg_lo:[0,0,1] neg_hi:[0,0,1]
	v_pk_fma_f32 v[18:19], v[18:19], 2.0, v[10:11] op_sel_hi:[1,0,1] neg_lo:[0,0,1] neg_hi:[0,0,1]
	;; [unrolled: 1-line block ×4, first 2 shown]
	ds_write2_b64 v122, v[16:17], v[8:9] offset1:8
	ds_write2_b64 v123, v[18:19], v[10:11] offset1:8
	;; [unrolled: 1-line block ×4, first 2 shown]
	s_waitcnt lgkmcnt(0)
	s_barrier
	global_load_dwordx2 v[76:77], v36, s[10:11] offset:112
	v_and_or_b32 v8, v4, s2, v34
	v_lshlrev_b32_e32 v126, 3, v8
	v_and_or_b32 v8, v5, s3, v34
	v_and_or_b32 v9, v6, s12, v34
	;; [unrolled: 1-line block ×3, first 2 shown]
	v_lshlrev_b32_e32 v127, 3, v8
	v_lshlrev_b32_e32 v128, 3, v9
	;; [unrolled: 1-line block ×3, first 2 shown]
	ds_read2_b64 v[8:11], v1 offset0:32 offset1:144
	ds_read2_b64 v[12:15], v3 offset0:64 offset1:176
	ds_read2_b64 v[16:19], v48 offset1:112
	ds_read2_b64 v[20:23], v2 offset0:96 offset1:208
	v_and_b32_e32 v36, 31, v85
	v_lshlrev_b32_e32 v34, 3, v36
	s_waitcnt lgkmcnt(0)
	s_barrier
	s_movk_i32 s2, 0xc0
	s_movk_i32 s3, 0x1c0
	;; [unrolled: 1-line block ×3, first 2 shown]
	s_waitcnt vmcnt(0)
	v_pk_mul_f32 v[24:25], v[10:11], v[76:77] op_sel:[0,1]
	v_pk_mul_f32 v[26:27], v[8:9], v[76:77] op_sel:[0,1]
	;; [unrolled: 1-line block ×4, first 2 shown]
	v_pk_fma_f32 v[32:33], v[10:11], v[76:77], v[24:25] op_sel:[0,0,1] op_sel_hi:[1,1,0] neg_lo:[0,0,1] neg_hi:[0,0,1]
	v_pk_fma_f32 v[10:11], v[10:11], v[76:77], v[24:25] op_sel:[0,0,1] op_sel_hi:[1,0,0]
	v_pk_fma_f32 v[24:25], v[8:9], v[76:77], v[26:27] op_sel:[0,0,1] op_sel_hi:[1,1,0] neg_lo:[0,0,1] neg_hi:[0,0,1]
	v_pk_fma_f32 v[8:9], v[8:9], v[76:77], v[26:27] op_sel:[0,0,1] op_sel_hi:[1,0,0]
	;; [unrolled: 2-line block ×4, first 2 shown]
	v_mov_b32_e32 v27, v15
	v_mov_b32_e32 v29, v13
	;; [unrolled: 1-line block ×4, first 2 shown]
	v_pk_add_f32 v[8:9], v[16:17], v[28:29] neg_lo:[0,1] neg_hi:[0,1]
	v_pk_add_f32 v[10:11], v[18:19], v[26:27] neg_lo:[0,1] neg_hi:[0,1]
	;; [unrolled: 1-line block ×4, first 2 shown]
	v_pk_fma_f32 v[16:17], v[16:17], 2.0, v[8:9] op_sel_hi:[1,0,1] neg_lo:[0,0,1] neg_hi:[0,0,1]
	v_pk_fma_f32 v[18:19], v[18:19], 2.0, v[10:11] op_sel_hi:[1,0,1] neg_lo:[0,0,1] neg_hi:[0,0,1]
	;; [unrolled: 1-line block ×4, first 2 shown]
	ds_write2_b64 v126, v[16:17], v[8:9] offset1:16
	ds_write2_b64 v127, v[18:19], v[10:11] offset1:16
	;; [unrolled: 1-line block ×4, first 2 shown]
	v_and_b32_e32 v8, 31, v0
	s_waitcnt lgkmcnt(0)
	s_barrier
	global_load_dword v84, v34, s[10:11] offset:244
	global_load_dwordx2 v[78:79], v37, s[10:11] offset:240
	global_load_dwordx2 v[80:81], v34, s[10:11] offset:240
	v_lshlrev_b32_e32 v9, 3, v8
	global_load_dword v82, v9, s[10:11] offset:240
	v_and_or_b32 v9, v4, s2, v35
	v_lshlrev_b32_e32 v130, 3, v9
	v_and_or_b32 v8, v5, s3, v8
	v_and_or_b32 v9, v6, s12, v35
	;; [unrolled: 1-line block ×3, first 2 shown]
	v_lshlrev_b32_e32 v131, 3, v8
	v_lshlrev_b32_e32 v132, 3, v9
	;; [unrolled: 1-line block ×3, first 2 shown]
	ds_read2_b64 v[8:11], v1 offset0:32 offset1:144
	ds_read2_b64 v[12:15], v3 offset0:64 offset1:176
	ds_read2_b64 v[16:19], v48 offset1:112
	ds_read2_b64 v[20:23], v2 offset0:96 offset1:208
	v_and_b32_e32 v37, 63, v85
	v_and_b32_e32 v34, 63, v50
	v_lshlrev_b32_e32 v35, 3, v37
	v_lshlrev_b32_e32 v40, 3, v34
	v_lshlrev_b32_e32 v36, 3, v38
	s_waitcnt lgkmcnt(0)
	s_barrier
	s_movk_i32 s2, 0x80
	s_movk_i32 s3, 0x180
	v_and_or_b32 v4, v4, s2, v34
	v_lshlrev_b32_e32 v134, 3, v4
	v_and_or_b32 v4, v5, s3, v39
	v_and_or_b32 v5, v6, s14, v38
	v_and_or_b32 v6, v7, s14, v37
	v_lshlrev_b32_e32 v136, 3, v4
	v_lshlrev_b32_e32 v137, 3, v5
	;; [unrolled: 1-line block ×3, first 2 shown]
	s_load_dwordx2 s[12:13], s[0:1], 0x38
	v_cmp_lt_u16_e64 s[2:3], 15, v50
	v_cmp_gt_u16_e64 s[0:1], 16, v50
	s_waitcnt vmcnt(3)
	v_pk_mul_f32 v[24:25], v[10:11], v[84:85] op_sel_hi:[1,0]
	s_waitcnt vmcnt(2)
	v_pk_mul_f32 v[26:27], v[8:9], v[78:79] op_sel:[0,1]
	s_waitcnt vmcnt(1)
	v_pk_mul_f32 v[28:29], v[14:15], v[80:81] op_sel:[0,1]
	v_pk_mul_f32 v[30:31], v[12:13], v[78:79] op_sel:[0,1]
	v_pk_fma_f32 v[32:33], v[10:11], v[80:81], v[24:25] op_sel:[0,0,1] op_sel_hi:[1,1,0] neg_lo:[0,0,1] neg_hi:[0,0,1]
	v_pk_fma_f32 v[10:11], v[10:11], v[80:81], v[24:25] op_sel:[0,0,1] op_sel_hi:[1,0,0]
	v_pk_fma_f32 v[24:25], v[8:9], v[78:79], v[26:27] op_sel:[0,0,1] op_sel_hi:[1,1,0] neg_lo:[0,0,1] neg_hi:[0,0,1]
	v_pk_fma_f32 v[8:9], v[8:9], v[78:79], v[26:27] op_sel:[0,0,1] op_sel_hi:[1,0,0]
	s_waitcnt vmcnt(0)
	v_pk_fma_f32 v[26:27], v[14:15], v[82:83], v[28:29] op_sel:[0,0,1] op_sel_hi:[1,1,0] neg_lo:[0,0,1] neg_hi:[0,0,1]
	v_pk_fma_f32 v[14:15], v[14:15], v[82:83], v[28:29] op_sel:[0,0,1] op_sel_hi:[1,0,0]
	v_pk_fma_f32 v[28:29], v[12:13], v[78:79], v[30:31] op_sel:[0,0,1] op_sel_hi:[1,1,0] neg_lo:[0,0,1] neg_hi:[0,0,1]
	v_pk_fma_f32 v[12:13], v[12:13], v[78:79], v[30:31] op_sel:[0,0,1] op_sel_hi:[1,0,0]
	v_mov_b32_e32 v27, v15
	v_mov_b32_e32 v29, v13
	v_mov_b32_e32 v25, v9
	v_mov_b32_e32 v33, v11
	v_pk_add_f32 v[8:9], v[16:17], v[28:29] neg_lo:[0,1] neg_hi:[0,1]
	v_pk_add_f32 v[10:11], v[18:19], v[26:27] neg_lo:[0,1] neg_hi:[0,1]
	;; [unrolled: 1-line block ×4, first 2 shown]
	v_pk_fma_f32 v[16:17], v[16:17], 2.0, v[8:9] op_sel_hi:[1,0,1] neg_lo:[0,0,1] neg_hi:[0,0,1]
	v_pk_fma_f32 v[18:19], v[18:19], 2.0, v[10:11] op_sel_hi:[1,0,1] neg_lo:[0,0,1] neg_hi:[0,0,1]
	v_pk_fma_f32 v[20:21], v[20:21], 2.0, v[12:13] op_sel_hi:[1,0,1] neg_lo:[0,0,1] neg_hi:[0,0,1]
	v_pk_fma_f32 v[22:23], v[22:23], 2.0, v[14:15] op_sel_hi:[1,0,1] neg_lo:[0,0,1] neg_hi:[0,0,1]
	ds_write2_b64 v130, v[16:17], v[8:9] offset1:32
	ds_write2_b64 v131, v[18:19], v[10:11] offset1:32
	;; [unrolled: 1-line block ×4, first 2 shown]
	s_waitcnt lgkmcnt(0)
	s_barrier
	global_load_dwordx2 v[92:93], v35, s[10:11] offset:496
	global_load_dwordx2 v[90:91], v36, s[10:11] offset:496
	;; [unrolled: 1-line block ×4, first 2 shown]
	ds_read2_b64 v[4:7], v1 offset0:32 offset1:144
	ds_read2_b64 v[8:11], v3 offset0:64 offset1:176
	;; [unrolled: 1-line block ×3, first 2 shown]
	ds_read2_b64 v[16:19], v48 offset1:112
	s_waitcnt lgkmcnt(0)
	s_barrier
	s_waitcnt vmcnt(3)
	v_pk_mul_f32 v[2:3], v[6:7], v[92:93] op_sel:[0,1]
	s_waitcnt vmcnt(2)
	v_pk_mul_f32 v[20:21], v[4:5], v[90:91] op_sel:[0,1]
	s_waitcnt vmcnt(1)
	v_pk_mul_f32 v[22:23], v[10:11], v[88:89] op_sel:[0,1]
	s_waitcnt vmcnt(0)
	v_pk_mul_f32 v[24:25], v[8:9], v[86:87] op_sel:[0,1]
	v_pk_fma_f32 v[26:27], v[6:7], v[92:93], v[2:3] op_sel:[0,0,1] op_sel_hi:[1,1,0] neg_lo:[0,0,1] neg_hi:[0,0,1]
	v_pk_fma_f32 v[2:3], v[6:7], v[92:93], v[2:3] op_sel:[0,0,1] op_sel_hi:[1,0,0]
	v_pk_fma_f32 v[6:7], v[4:5], v[90:91], v[20:21] op_sel:[0,0,1] op_sel_hi:[1,1,0] neg_lo:[0,0,1] neg_hi:[0,0,1]
	v_pk_fma_f32 v[4:5], v[4:5], v[90:91], v[20:21] op_sel:[0,0,1] op_sel_hi:[1,0,0]
	;; [unrolled: 2-line block ×4, first 2 shown]
	v_mov_b32_e32 v21, v11
	v_mov_b32_e32 v23, v9
	;; [unrolled: 1-line block ×4, first 2 shown]
	v_pk_add_f32 v[2:3], v[16:17], v[22:23] neg_lo:[0,1] neg_hi:[0,1]
	v_pk_add_f32 v[4:5], v[18:19], v[20:21] neg_lo:[0,1] neg_hi:[0,1]
	;; [unrolled: 1-line block ×4, first 2 shown]
	v_pk_fma_f32 v[8:9], v[16:17], 2.0, v[2:3] op_sel_hi:[1,0,1] neg_lo:[0,0,1] neg_hi:[0,0,1]
	v_pk_fma_f32 v[10:11], v[18:19], 2.0, v[4:5] op_sel_hi:[1,0,1] neg_lo:[0,0,1] neg_hi:[0,0,1]
	;; [unrolled: 1-line block ×4, first 2 shown]
	ds_write2st64_b64 v134, v[8:9], v[2:3] offset1:1
	ds_write2st64_b64 v136, v[10:11], v[4:5] offset1:1
	;; [unrolled: 1-line block ×4, first 2 shown]
	s_waitcnt lgkmcnt(0)
	s_barrier
	ds_read_b64 v[98:99], v48 offset:6144
	ds_read2st64_b64 v[28:31], v48 offset1:2
	ds_read2st64_b64 v[32:35], v48 offset0:4 offset1:6
	ds_read2st64_b64 v[36:39], v48 offset0:8 offset1:10
	s_and_saveexec_b64 s[14:15], s[0:1]
	s_cbranch_execz .LBB0_3
; %bb.2:
	v_add_u32_e32 v1, 0x180, v48
	ds_read2st64_b64 v[40:43], v1 offset0:5 offset1:7
	ds_read2st64_b64 v[44:47], v1 offset0:9 offset1:11
	ds_read_b64 v[96:97], v48 offset:7040
	ds_read2_b64 v[24:27], v48 offset0:112 offset1:240
	s_waitcnt lgkmcnt(3)
	v_mov_b32_e32 v100, v43
	s_waitcnt lgkmcnt(2)
	v_mov_b32_e32 v102, v47
	;; [unrolled: 2-line block ×3, first 2 shown]
	v_mov_b32_e32 v110, v45
	v_mov_b32_e32 v112, v41
	s_waitcnt lgkmcnt(0)
	v_mov_b32_e32 v114, v27
.LBB0_3:
	s_or_b64 exec, exec, s[14:15]
	v_mad_u64_u32 v[2:3], s[14:15], v50, 48, s[10:11]
	global_load_dwordx4 v[16:19], v[2:3], off offset:1024
	global_load_dwordx4 v[12:15], v[2:3], off offset:1040
	;; [unrolled: 1-line block ×3, first 2 shown]
	v_and_b32_e32 v0, 0x7f, v0
	v_mad_u64_u32 v[94:95], s[10:11], v0, 48, s[10:11]
	global_load_dwordx4 v[4:7], v[94:95], off offset:1008
	global_load_dwordx4 v[0:3], v[94:95], off offset:1024
	;; [unrolled: 1-line block ×3, first 2 shown]
	s_mov_b32 s24, 0x3d64c772
	s_mov_b32 s26, 0xbf08b237
	;; [unrolled: 1-line block ×8, first 2 shown]
	v_lshlrev_b32_e32 v139, 4, v83
	v_lshlrev_b32_e32 v138, 4, v85
	v_mov_b32_e32 v108, v70
	v_mov_b32_e32 v109, v70
	;; [unrolled: 1-line block ×8, first 2 shown]
	s_waitcnt vmcnt(5)
	v_mov_b32_e32 v97, v16
	s_waitcnt vmcnt(4) lgkmcnt(3)
	v_mul_f32_e32 v142, v98, v15
	s_waitcnt vmcnt(3) lgkmcnt(2)
	v_mul_f32_e32 v140, v30, v21
	v_fmac_f32_e32 v140, v31, v20
	v_fmac_f32_e32 v142, v99, v14
	s_waitcnt lgkmcnt(1)
	v_mul_f32_e32 v16, v33, v23
	s_waitcnt lgkmcnt(0)
	v_mul_f32_e32 v27, v39, v13
	s_waitcnt vmcnt(2)
	v_pk_mul_f32 v[144:145], v[114:115], v[4:5] op_sel_hi:[0,1]
	v_pk_mul_f32 v[112:113], v[112:113], v[6:7] op_sel_hi:[0,1]
	s_waitcnt vmcnt(0)
	v_pk_mul_f32 v[102:103], v[102:103], v[8:9] op_sel_hi:[0,1]
	v_pk_mul_f32 v[104:105], v[104:105], v[10:11] op_sel_hi:[0,1]
	v_add_f32_e32 v41, v140, v142
	v_fma_f32 v43, v32, v22, -v16
	v_fma_f32 v45, v38, v12, -v27
	v_pk_mul_f32 v[100:101], v[100:101], v[0:1] op_sel_hi:[0,1]
	v_pk_mul_f32 v[110:111], v[110:111], v[2:3] op_sel_hi:[0,1]
	v_pk_fma_f32 v[146:147], v[40:41], v[6:7], v[112:113] op_sel:[0,0,1] op_sel_hi:[1,1,0] neg_lo:[0,0,1] neg_hi:[0,0,1]
	v_pk_fma_f32 v[112:113], v[40:41], v[6:7], v[112:113] op_sel:[0,0,1] op_sel_hi:[0,1,0]
	v_pk_fma_f32 v[152:153], v[46:47], v[8:9], v[102:103] op_sel:[0,0,1] op_sel_hi:[1,1,0] neg_lo:[0,0,1] neg_hi:[0,0,1]
	v_pk_fma_f32 v[46:47], v[46:47], v[8:9], v[102:103] op_sel:[0,0,1] op_sel_hi:[0,1,0]
	;; [unrolled: 2-line block ×6, first 2 shown]
	v_mov_b32_e32 v155, v27
	v_mov_b32_e32 v147, v113
	;; [unrolled: 1-line block ×6, first 2 shown]
	v_pk_add_f32 v[26:27], v[154:155], v[102:103]
	v_pk_add_f32 v[100:101], v[146:147], v[152:153]
	;; [unrolled: 1-line block ×4, first 2 shown]
	v_pk_add_f32 v[46:47], v[154:155], v[102:103] neg_lo:[0,1] neg_hi:[0,1]
	v_pk_add_f32 v[102:103], v[146:147], v[152:153] neg_lo:[0,1] neg_hi:[0,1]
	;; [unrolled: 1-line block ×3, first 2 shown]
	v_mov_b32_e32 v155, v105
	v_mov_b32_e32 v154, v112
	;; [unrolled: 1-line block ×3, first 2 shown]
	v_pk_add_f32 v[146:147], v[100:101], v[26:27] neg_lo:[0,1] neg_hi:[0,1]
	v_pk_add_f32 v[148:149], v[144:145], v[102:103] op_sel:[1,1] op_sel_hi:[0,0]
	v_pk_add_f32 v[152:153], v[102:103], v[46:47] op_sel:[1,1] op_sel_hi:[0,0] neg_lo:[0,1] neg_hi:[0,1]
	v_pk_add_f32 v[100:101], v[104:105], v[100:101] neg_lo:[0,1] neg_hi:[0,1]
	v_pk_add_f32 v[154:155], v[154:155], v[112:113]
	v_pk_add_f32 v[102:103], v[144:145], v[102:103] op_sel:[1,1] op_sel_hi:[0,0] neg_lo:[0,1] neg_hi:[0,1]
	v_pk_add_f32 v[26:27], v[26:27], v[104:105] neg_lo:[0,1] neg_hi:[0,1]
	v_pk_add_f32 v[150:151], v[46:47], v[144:145] op_sel:[1,1] op_sel_hi:[0,0] neg_lo:[0,1] neg_hi:[0,1]
	v_pk_add_f32 v[46:47], v[148:149], v[46:47] op_sel:[0,1] op_sel_hi:[1,0]
	v_pk_mul_f32 v[100:101], v[100:101], s[24:25] op_sel_hi:[1,0]
	v_pk_add_f32 v[112:113], v[24:25], v[154:155]
	v_pk_mul_f32 v[102:103], v[102:103], s[26:27] op_sel_hi:[1,0]
	v_pk_mul_f32 v[104:105], v[26:27], s[10:11] op_sel_hi:[1,0]
	;; [unrolled: 1-line block ×4, first 2 shown]
	v_pk_fma_f32 v[26:27], v[26:27], s[10:11], v[100:101] op_sel_hi:[1,0,1]
	v_pk_fma_f32 v[100:101], v[146:147], s[18:19], v[100:101] op_sel_hi:[1,0,1] neg_lo:[0,0,1] neg_hi:[0,0,1]
	v_pk_fma_f32 v[154:155], v[154:155], s[20:21], v[112:113] op_sel_hi:[1,0,1] neg_lo:[1,0,0] neg_hi:[1,0,0]
	;; [unrolled: 1-line block ×3, first 2 shown]
	v_pk_fma_f32 v[102:103], v[150:151], s[22:23], v[102:103] op_sel_hi:[1,0,1]
	v_mov_b32_e32 v24, v27
	v_mov_b32_e32 v25, v100
	v_pk_fma_f32 v[104:105], v[146:147], s[18:19], v[104:105] op_sel_hi:[1,0,1] neg_lo:[1,0,1] neg_hi:[1,0,1]
	v_mov_b32_e32 v146, v103
	v_pk_fma_f32 v[148:149], v[150:151], s[22:23], v[148:149] op_sel_hi:[1,0,1] neg_lo:[1,0,1] neg_hi:[1,0,1]
	v_mov_b32_e32 v150, v156
	v_mov_b32_e32 v151, v155
	v_mov_b32_e32 v103, v101
	v_mov_b32_e32 v94, v19
	v_mov_b32_e32 v95, v12
	v_pk_add_f32 v[104:105], v[104:105], v[154:155]
	v_pk_add_f32 v[24:25], v[24:25], v[154:155] op_sel:[0,1] op_sel_hi:[1,0]
	v_pk_add_f32 v[150:151], v[150:151], v[102:103]
	v_mov_b32_e32 v27, v145
	v_mov_b32_e32 v155, v157
	;; [unrolled: 1-line block ×5, first 2 shown]
	v_pk_add_f32 v[144:145], v[26:27], v[154:155]
	v_pk_fma_f32 v[26:27], v[46:47], s[14:15], v[148:149] op_sel_hi:[1,0,1]
	v_pk_mul_f32 v[148:149], v[102:103], v[94:95]
	v_mov_b32_e32 v152, v36
	v_mov_b32_e32 v153, v38
	v_pk_fma_f32 v[38:39], v[36:37], v[18:19], v[148:149] neg_lo:[0,0,1] neg_hi:[0,0,1]
	v_mov_b32_e32 v102, v98
	v_mov_b32_e32 v103, v36
	;; [unrolled: 1-line block ×5, first 2 shown]
	v_pk_mul_f32 v[36:37], v[36:37], v[98:99]
	v_mov_b32_e32 v98, v14
	v_mov_b32_e32 v99, v19
	v_pk_fma_f32 v[154:155], v[102:103], v[98:99], v[36:37] neg_lo:[0,0,1] neg_hi:[0,0,1]
	v_pk_fma_f32 v[36:37], v[102:103], v[98:99], v[36:37]
	v_mov_b32_e32 v98, v35
	v_mov_b32_e32 v99, v32
	;; [unrolled: 1-line block ×4, first 2 shown]
	v_pk_add_f32 v[100:101], v[156:157], v[146:147] op_sel:[1,0] op_sel_hi:[0,1]
	v_pk_add_f32 v[46:47], v[104:105], v[26:27]
	v_pk_add_f32 v[26:27], v[104:105], v[26:27] neg_lo:[0,1] neg_hi:[0,1]
	v_mov_b32_e32 v104, v34
	v_mov_b32_e32 v105, v33
	;; [unrolled: 1-line block ×4, first 2 shown]
	v_pk_mul_f32 v[32:33], v[98:99], v[102:103]
	v_mov_b32_e32 v16, v21
	v_pk_fma_f32 v[98:99], v[104:105], v[146:147], v[32:33]
	v_pk_fma_f32 v[32:33], v[34:35], v[146:147], v[32:33] neg_lo:[0,0,1] neg_hi:[0,0,1]
	v_mov_b32_e32 v105, v35
	v_mov_b32_e32 v35, v34
	;; [unrolled: 1-line block ×5, first 2 shown]
	v_pk_mul_f32 v[30:31], v[34:35], v[16:17]
	v_mov_b32_e32 v155, v37
	v_pk_fma_f32 v[34:35], v[104:105], v[96:97], v[30:31] neg_lo:[0,0,1] neg_hi:[0,0,1]
	v_pk_fma_f32 v[30:31], v[104:105], v[96:97], v[30:31]
	v_mov_b32_e32 v104, v18
	v_mov_b32_e32 v105, v13
	;; [unrolled: 1-line block ×3, first 2 shown]
	v_pk_fma_f32 v[146:147], v[152:153], v[104:105], v[148:149]
	v_mov_b32_e32 v141, v34
	v_mov_b32_e32 v39, v147
	;; [unrolled: 1-line block ×5, first 2 shown]
	v_pk_add_f32 v[146:147], v[34:35], v[154:155]
	v_mov_b32_e32 v34, v37
	v_mov_b32_e32 v35, v38
	;; [unrolled: 1-line block ×5, first 2 shown]
	v_pk_add_f32 v[140:141], v[140:141], v[142:143] neg_lo:[0,1] neg_hi:[0,1]
	v_pk_add_f32 v[142:143], v[42:43], v[44:45] neg_lo:[0,1] neg_hi:[0,1]
	;; [unrolled: 1-line block ×3, first 2 shown]
	v_add_f32_e32 v110, v43, v45
	v_pk_add_f32 v[42:43], v[32:33], v[38:39]
	v_mov_b32_e32 v98, v30
	v_mov_b32_e32 v99, v141
	;; [unrolled: 1-line block ×4, first 2 shown]
	v_add_f32_e32 v32, v110, v146
	v_add_f32_e32 v35, v43, v41
	v_mov_b32_e32 v40, v42
	v_mov_b32_e32 v111, v147
	v_pk_add_f32 v[44:45], v[30:31], v[142:143]
	v_pk_add_f32 v[98:99], v[98:99], v[148:149] neg_lo:[0,1] neg_hi:[0,1]
	v_mov_b32_e32 v148, v140
	v_mov_b32_e32 v31, v143
	;; [unrolled: 1-line block ×4, first 2 shown]
	v_pk_add_f32 v[36:37], v[40:41], v[110:111] neg_lo:[0,1] neg_hi:[0,1]
	v_pk_add_f32 v[148:149], v[148:149], v[30:31] neg_lo:[0,1] neg_hi:[0,1]
	v_pk_add_f32 v[30:31], v[32:33], v[34:35]
	s_mov_b32 s25, s10
	s_mov_b32 s27, s22
	v_pk_add_f32 v[38:39], v[146:147], v[42:43] neg_lo:[0,1] neg_hi:[0,1]
	v_pk_add_f32 v[28:29], v[28:29], v[30:31]
	v_pk_mul_f32 v[36:37], v[36:37], s[24:25]
	s_mov_b32 s11, s24
	s_mov_b32 s23, s26
	v_pk_mul_f32 v[154:155], v[98:99], s[26:27]
	v_pk_add_f32 v[152:153], v[44:45], v[140:141]
	v_pk_fma_f32 v[156:157], v[30:31], s[20:21], v[28:29] op_sel_hi:[1,0,1] neg_lo:[1,0,0] neg_hi:[1,0,0]
	v_pk_fma_f32 v[30:31], v[38:39], s[10:11], v[36:37]
	v_pk_fma_f32 v[32:33], v[148:149], s[22:23], v[154:155]
	v_pk_add_f32 v[30:31], v[30:31], v[156:157]
	v_pk_fma_f32 v[32:33], v[152:153], s[14:15], v[32:33] op_sel_hi:[1,0,1]
	v_pk_add_f32 v[98:99], v[144:145], v[150:151] neg_lo:[0,1] neg_hi:[0,1]
	v_pk_add_f32 v[158:159], v[30:31], v[32:33] neg_lo:[0,1] neg_hi:[0,1]
	v_pk_add_f32 v[160:161], v[30:31], v[32:33]
	v_mov_b32_e32 v31, v159
	v_mov_b32_e32 v30, v160
	ds_write2st64_b64 v48, v[28:29], v[30:31] offset1:2
	v_pk_add_f32 v[32:33], v[24:25], v[100:101] neg_lo:[0,1] neg_hi:[0,1]
	v_pk_add_f32 v[100:101], v[24:25], v[100:101]
	v_pk_add_f32 v[24:25], v[144:145], v[150:151]
	v_pk_add_f32 v[30:31], v[150:151], v[144:145] neg_lo:[0,1] neg_hi:[0,1]
	v_mov_b32_e32 v99, v25
	v_mov_b32_e32 v30, v24
	;; [unrolled: 1-line block ×3, first 2 shown]
	v_pk_mul_f32 v[24:25], v[38:39], s[10:11]
	v_pk_mul_f32 v[144:145], v[148:149], s[22:23]
	v_mov_b32_e32 v147, v41
	v_mov_b32_e32 v34, v32
	;; [unrolled: 1-line block ×4, first 2 shown]
	v_pk_add_f32 v[38:39], v[110:111], v[146:147] neg_lo:[0,1] neg_hi:[0,1]
	v_pk_add_f32 v[110:111], v[142:143], v[140:141] neg_lo:[0,1] neg_hi:[0,1]
	v_mov_b32_e32 v32, v24
	v_mov_b32_e32 v33, v37
	;; [unrolled: 1-line block ×6, first 2 shown]
	v_pk_fma_f32 v[32:33], v[38:39], s[18:19], v[32:33] op_sel_hi:[1,0,1] neg_lo:[1,0,1] neg_hi:[1,0,1]
	v_pk_fma_f32 v[40:41], v[110:111], s[16:17], v[40:41] op_sel_hi:[1,0,1] neg_lo:[1,0,1] neg_hi:[1,0,1]
	;; [unrolled: 1-line block ×4, first 2 shown]
	v_pk_add_f32 v[32:33], v[32:33], v[156:157]
	v_pk_fma_f32 v[40:41], v[152:153], s[14:15], v[40:41] op_sel_hi:[1,0,1]
	v_pk_add_f32 v[144:145], v[146:147], v[156:157]
	v_pk_fma_f32 v[110:111], v[152:153], s[14:15], v[110:111] op_sel_hi:[1,0,1]
	v_pk_add_f32 v[140:141], v[32:33], v[40:41] neg_lo:[0,1] neg_hi:[0,1]
	v_pk_add_f32 v[142:143], v[32:33], v[40:41]
	v_pk_add_f32 v[148:149], v[144:145], v[110:111]
	v_pk_add_f32 v[110:111], v[144:145], v[110:111] neg_lo:[0,1] neg_hi:[0,1]
	v_mov_b32_e32 v28, v46
	v_mov_b32_e32 v29, v27
	;; [unrolled: 1-line block ×35, first 2 shown]
	ds_write2st64_b64 v48, v[146:147], v[144:145] offset0:4 offset1:6
	ds_write2st64_b64 v48, v[148:149], v[140:141] offset0:8 offset1:10
	ds_write_b64 v48, v[158:159] offset:6144
	s_and_saveexec_b64 s[10:11], s[0:1]
	s_cbranch_execz .LBB0_5
; %bb.4:
	v_mov_b32_e32 v140, v30
	v_mov_b32_e32 v141, v34
	ds_write2_b64 v48, v[112:113], v[140:141] offset0:112 offset1:240
	v_mov_b32_e32 v112, v101
	v_mov_b32_e32 v113, v99
	v_add_u32_e32 v19, 0x180, v48
	ds_write2st64_b64 v19, v[28:29], v[112:113] offset0:5 offset1:7
	v_mov_b32_e32 v112, v35
	v_mov_b32_e32 v113, v31
	ds_write2st64_b64 v19, v[112:113], v[26:27] offset0:9 offset1:11
	v_mov_b32_e32 v112, v98
	v_mov_b32_e32 v113, v100
	ds_write_b64 v48, v[112:113] offset:7040
.LBB0_5:
	s_or_b64 exec, exec, s[10:11]
	v_lshlrev_b32_e32 v112, 3, v50
	v_mov_b32_e32 v113, 0
	v_lshl_add_u64 v[112:113], s[8:9], 0, v[112:113]
	v_add_co_u32_e32 v144, vcc, 0x1000, v112
	s_waitcnt lgkmcnt(0)
	s_nop 0
	v_addc_co_u32_e32 v145, vcc, 0, v113, vcc
	s_barrier
	global_load_dwordx2 v[144:145], v[144:145], off offset:3072
	ds_read2_b64 v[140:143], v48 offset1:112
	s_mov_b64 s[8:9], 0x1c00
	v_lshl_add_u64 v[148:149], v[112:113], 0, s[8:9]
	s_movk_i32 s8, 0x2000
	v_add_u32_e32 v164, 0x1400, v48
	s_waitcnt vmcnt(0) lgkmcnt(0)
	v_mul_f32_e32 v19, v141, v145
	v_mul_f32_e32 v147, v140, v145
	v_fma_f32 v146, v140, v144, -v19
	v_fmac_f32_e32 v147, v141, v144
	global_load_dwordx2 v[140:141], v[148:149], off offset:3584
	ds_write_b64 v48, v[146:147]
	v_add_u32_e32 v19, 0xc00, v48
	ds_read2_b64 v[144:147], v19 offset0:64 offset1:176
	s_waitcnt vmcnt(0) lgkmcnt(0)
	v_mul_f32_e32 v111, v145, v141
	v_mul_f32_e32 v151, v144, v141
	v_fma_f32 v150, v144, v140, -v111
	v_fmac_f32_e32 v151, v145, v140
	global_load_dwordx2 v[140:141], v[148:149], off offset:896
	s_waitcnt vmcnt(0)
	v_mul_f32_e32 v111, v143, v141
	v_mul_f32_e32 v145, v142, v141
	v_fma_f32 v144, v142, v140, -v111
	v_fmac_f32_e32 v145, v143, v140
	v_add_co_u32_e32 v140, vcc, s8, v112
	s_movk_i32 s8, 0x3000
	s_nop 0
	v_addc_co_u32_e32 v141, vcc, 0, v113, vcc
	global_load_dwordx2 v[140:141], v[140:141], off offset:3456
	v_add_co_u32_e32 v112, vcc, s8, v112
	s_waitcnt vmcnt(0)
	v_mul_f32_e32 v111, v147, v141
	v_mul_f32_e32 v153, v146, v141
	v_fma_f32 v152, v146, v140, -v111
	v_fmac_f32_e32 v153, v147, v140
	global_load_dwordx2 v[146:147], v[148:149], off offset:1792
	v_add_u32_e32 v111, 0x400, v48
	ds_read2_b64 v[140:143], v111 offset0:96 offset1:208
	v_addc_co_u32_e32 v113, vcc, 0, v113, vcc
	s_waitcnt vmcnt(0) lgkmcnt(0)
	v_mul_f32_e32 v114, v141, v147
	v_mul_f32_e32 v155, v140, v147
	v_fma_f32 v154, v140, v146, -v114
	v_fmac_f32_e32 v155, v141, v146
	global_load_dwordx2 v[140:141], v[112:113], off offset:256
	ds_write2_b64 v48, v[144:145], v[154:155] offset0:112 offset1:224
	ds_read2_b64 v[144:147], v164 offset0:32 offset1:144
	global_load_dwordx2 v[112:113], v[112:113], off offset:1152
	s_waitcnt vmcnt(1) lgkmcnt(0)
	v_mul_f32_e32 v114, v145, v141
	v_mul_f32_e32 v155, v144, v141
	v_fma_f32 v154, v144, v140, -v114
	v_fmac_f32_e32 v155, v145, v140
	global_load_dwordx2 v[140:141], v[148:149], off offset:2688
	v_add_u32_e32 v114, 0x1000, v48
	ds_write2_b64 v114, v[152:153], v[154:155] offset0:48 offset1:160
	s_waitcnt vmcnt(0)
	v_mul_f32_e32 v114, v143, v141
	v_mul_f32_e32 v145, v142, v141
	v_fma_f32 v144, v142, v140, -v114
	v_fmac_f32_e32 v145, v143, v140
	v_add_u32_e32 v114, 0x800, v48
	ds_write2_b64 v114, v[144:145], v[150:151] offset0:80 offset1:192
	v_mul_f32_e32 v114, v147, v113
	v_mul_f32_e32 v141, v146, v113
	v_fma_f32 v140, v146, v112, -v114
	v_fmac_f32_e32 v141, v147, v112
	ds_write_b64 v48, v[140:141] offset:6272
	s_waitcnt lgkmcnt(0)
	s_barrier
	ds_read2_b64 v[140:143], v48 offset1:112
	ds_read2_b64 v[144:147], v19 offset0:64 offset1:176
	ds_read2_b64 v[152:155], v111 offset0:96 offset1:208
	;; [unrolled: 1-line block ×3, first 2 shown]
	s_waitcnt lgkmcnt(0)
	s_barrier
	v_pk_add_f32 v[150:151], v[140:141], v[144:145] neg_lo:[0,1] neg_hi:[0,1]
	v_pk_add_f32 v[144:145], v[142:143], v[146:147] neg_lo:[0,1] neg_hi:[0,1]
	v_pk_fma_f32 v[148:149], v[140:141], 2.0, v[150:151] op_sel_hi:[1,0,1] neg_lo:[0,0,1] neg_hi:[0,0,1]
	v_pk_fma_f32 v[142:143], v[142:143], 2.0, v[144:145] op_sel_hi:[1,0,1] neg_lo:[0,0,1] neg_hi:[0,0,1]
	v_pk_add_f32 v[162:163], v[152:153], v[156:157] neg_lo:[0,1] neg_hi:[0,1]
	v_pk_add_f32 v[156:157], v[154:155], v[158:159] neg_lo:[0,1] neg_hi:[0,1]
	v_pk_fma_f32 v[160:161], v[152:153], 2.0, v[162:163] op_sel_hi:[1,0,1] neg_lo:[0,0,1] neg_hi:[0,0,1]
	v_pk_fma_f32 v[154:155], v[154:155], 2.0, v[156:157] op_sel_hi:[1,0,1] neg_lo:[0,0,1] neg_hi:[0,0,1]
	ds_write_b128 v49, v[148:151]
	ds_write_b128 v51, v[142:145]
	ds_write_b128 v139, v[160:163]
	ds_write_b128 v138, v[154:157]
	s_waitcnt lgkmcnt(0)
	s_barrier
	ds_read2_b64 v[138:141], v111 offset0:96 offset1:208
	ds_read2_b64 v[142:145], v164 offset0:32 offset1:144
	s_waitcnt lgkmcnt(0)
	v_pk_mul_f32 v[112:113], v[70:71], v[144:145]
	s_nop 0
	v_pk_fma_f32 v[146:147], v[108:109], v[144:145], v[112:113] op_sel:[0,0,1] op_sel_hi:[1,1,0]
	v_pk_fma_f32 v[112:113], v[108:109], v[144:145], v[112:113] op_sel:[0,0,1] op_sel_hi:[1,1,0] neg_lo:[0,0,1] neg_hi:[0,0,1]
	s_nop 0
	v_mov_b32_e32 v147, v113
	v_pk_add_f32 v[112:113], v[140:141], v[146:147] neg_lo:[0,1] neg_hi:[0,1]
	s_nop 0
	v_pk_fma_f32 v[146:147], v[140:141], 2.0, v[112:113] op_sel_hi:[1,0,1] neg_lo:[0,0,1] neg_hi:[0,0,1]
	v_pk_mul_f32 v[140:141], v[70:71], v[142:143]
	s_nop 0
	v_pk_fma_f32 v[144:145], v[108:109], v[142:143], v[140:141] op_sel:[0,0,1] op_sel_hi:[1,1,0]
	v_pk_fma_f32 v[140:141], v[108:109], v[142:143], v[140:141] op_sel:[0,0,1] op_sel_hi:[1,1,0] neg_lo:[0,0,1] neg_hi:[0,0,1]
	s_nop 0
	v_mov_b32_e32 v145, v141
	v_pk_add_f32 v[148:149], v[138:139], v[144:145] neg_lo:[0,1] neg_hi:[0,1]
	s_nop 0
	v_pk_fma_f32 v[150:151], v[138:139], 2.0, v[148:149] op_sel_hi:[1,0,1] neg_lo:[0,0,1] neg_hi:[0,0,1]
	ds_read2_b64 v[138:141], v48 offset1:112
	ds_read2_b64 v[142:145], v19 offset0:64 offset1:176
	s_waitcnt lgkmcnt(0)
	s_barrier
	v_pk_mul_f32 v[152:153], v[70:71], v[144:145]
	v_pk_mul_f32 v[70:71], v[70:71], v[142:143]
	v_pk_fma_f32 v[154:155], v[108:109], v[144:145], v[152:153] op_sel:[0,0,1] op_sel_hi:[1,1,0]
	v_pk_fma_f32 v[144:145], v[108:109], v[144:145], v[152:153] op_sel:[0,0,1] op_sel_hi:[1,1,0] neg_lo:[0,0,1] neg_hi:[0,0,1]
	v_pk_fma_f32 v[152:153], v[108:109], v[142:143], v[70:71] op_sel:[0,0,1] op_sel_hi:[1,1,0]
	v_pk_fma_f32 v[70:71], v[108:109], v[142:143], v[70:71] op_sel:[0,0,1] op_sel_hi:[1,1,0] neg_lo:[0,0,1] neg_hi:[0,0,1]
	v_mov_b32_e32 v155, v145
	v_mov_b32_e32 v153, v71
	v_pk_add_f32 v[144:145], v[140:141], v[154:155] neg_lo:[0,1] neg_hi:[0,1]
	v_pk_add_f32 v[70:71], v[138:139], v[152:153] neg_lo:[0,1] neg_hi:[0,1]
	v_pk_fma_f32 v[140:141], v[140:141], 2.0, v[144:145] op_sel_hi:[1,0,1] neg_lo:[0,0,1] neg_hi:[0,0,1]
	v_pk_fma_f32 v[108:109], v[138:139], 2.0, v[70:71] op_sel_hi:[1,0,1] neg_lo:[0,0,1] neg_hi:[0,0,1]
	ds_write2_b64 v59, v[108:109], v[70:71] offset1:2
	ds_write2_b64 v115, v[140:141], v[144:145] offset1:2
	ds_write2_b64 v116, v[150:151], v[148:149] offset1:2
	ds_write2_b64 v117, v[146:147], v[112:113] offset1:2
	s_waitcnt lgkmcnt(0)
	s_barrier
	ds_read2_b64 v[112:115], v111 offset0:96 offset1:208
	ds_read2_b64 v[138:141], v164 offset0:32 offset1:144
	s_waitcnt lgkmcnt(0)
	v_pk_mul_f32 v[70:71], v[72:73], v[140:141]
	s_nop 0
	v_pk_fma_f32 v[108:109], v[106:107], v[140:141], v[70:71] op_sel:[0,0,1] op_sel_hi:[1,1,0]
	v_pk_fma_f32 v[70:71], v[106:107], v[140:141], v[70:71] op_sel:[0,0,1] op_sel_hi:[1,1,0] neg_lo:[0,0,1] neg_hi:[0,0,1]
	s_nop 0
	v_mov_b32_e32 v109, v71
	v_pk_add_f32 v[70:71], v[114:115], v[108:109] neg_lo:[0,1] neg_hi:[0,1]
	s_nop 0
	v_pk_fma_f32 v[108:109], v[114:115], 2.0, v[70:71] op_sel_hi:[1,0,1] neg_lo:[0,0,1] neg_hi:[0,0,1]
	v_pk_mul_f32 v[114:115], v[72:73], v[138:139]
	s_nop 0
	v_pk_fma_f32 v[116:117], v[106:107], v[138:139], v[114:115] op_sel:[0,0,1] op_sel_hi:[1,1,0]
	v_pk_fma_f32 v[114:115], v[106:107], v[138:139], v[114:115] op_sel:[0,0,1] op_sel_hi:[1,1,0] neg_lo:[0,0,1] neg_hi:[0,0,1]
	s_nop 0
	v_mov_b32_e32 v117, v115
	v_pk_add_f32 v[116:117], v[112:113], v[116:117] neg_lo:[0,1] neg_hi:[0,1]
	s_nop 0
	v_pk_fma_f32 v[142:143], v[112:113], 2.0, v[116:117] op_sel_hi:[1,0,1] neg_lo:[0,0,1] neg_hi:[0,0,1]
	ds_read2_b64 v[112:115], v48 offset1:112
	ds_read2_b64 v[138:141], v19 offset0:64 offset1:176
	s_waitcnt lgkmcnt(0)
	s_barrier
	v_pk_mul_f32 v[144:145], v[72:73], v[140:141]
	v_pk_mul_f32 v[72:73], v[72:73], v[138:139]
	v_pk_fma_f32 v[146:147], v[106:107], v[140:141], v[144:145] op_sel:[0,0,1] op_sel_hi:[1,1,0]
	v_pk_fma_f32 v[140:141], v[106:107], v[140:141], v[144:145] op_sel:[0,0,1] op_sel_hi:[1,1,0] neg_lo:[0,0,1] neg_hi:[0,0,1]
	v_pk_fma_f32 v[144:145], v[106:107], v[138:139], v[72:73] op_sel:[0,0,1] op_sel_hi:[1,1,0]
	v_pk_fma_f32 v[72:73], v[106:107], v[138:139], v[72:73] op_sel:[0,0,1] op_sel_hi:[1,1,0] neg_lo:[0,0,1] neg_hi:[0,0,1]
	v_mov_b32_e32 v147, v141
	v_mov_b32_e32 v145, v73
	v_pk_add_f32 v[72:73], v[112:113], v[144:145] neg_lo:[0,1] neg_hi:[0,1]
	v_pk_add_f32 v[140:141], v[114:115], v[146:147] neg_lo:[0,1] neg_hi:[0,1]
	v_pk_fma_f32 v[106:107], v[112:113], 2.0, v[72:73] op_sel_hi:[1,0,1] neg_lo:[0,0,1] neg_hi:[0,0,1]
	v_pk_fma_f32 v[114:115], v[114:115], 2.0, v[140:141] op_sel_hi:[1,0,1] neg_lo:[0,0,1] neg_hi:[0,0,1]
	ds_write2_b64 v118, v[106:107], v[72:73] offset1:4
	ds_write2_b64 v119, v[114:115], v[140:141] offset1:4
	ds_write2_b64 v120, v[142:143], v[116:117] offset1:4
	ds_write2_b64 v121, v[108:109], v[70:71] offset1:4
	;; [unrolled: 43-line block ×4, first 2 shown]
	s_waitcnt lgkmcnt(0)
	s_barrier
	ds_read2_b64 v[44:47], v111 offset0:96 offset1:208
	ds_read2_b64 v[70:73], v164 offset0:32 offset1:144
	s_waitcnt lgkmcnt(0)
	v_pk_mul_f32 v[74:75], v[84:85], v[72:73]
	s_nop 0
	v_pk_fma_f32 v[76:77], v[42:43], v[72:73], v[74:75] op_sel:[0,0,1] op_sel_hi:[1,1,0]
	v_pk_fma_f32 v[42:43], v[42:43], v[72:73], v[74:75] op_sel:[0,0,1] op_sel_hi:[1,1,0] neg_lo:[0,0,1] neg_hi:[0,0,1]
	s_nop 0
	v_mov_b32_e32 v77, v43
	v_pk_mul_f32 v[42:43], v[78:79], v[70:71]
	v_pk_add_f32 v[74:75], v[46:47], v[76:77] neg_lo:[0,1] neg_hi:[0,1]
	v_pk_fma_f32 v[72:73], v[40:41], v[70:71], v[42:43] op_sel:[0,0,1] op_sel_hi:[1,1,0]
	v_pk_fma_f32 v[42:43], v[40:41], v[70:71], v[42:43] op_sel:[0,0,1] op_sel_hi:[1,1,0] neg_lo:[0,0,1] neg_hi:[0,0,1]
	v_pk_fma_f32 v[46:47], v[46:47], 2.0, v[74:75] op_sel_hi:[1,0,1] neg_lo:[0,0,1] neg_hi:[0,0,1]
	v_mov_b32_e32 v73, v43
	v_pk_add_f32 v[76:77], v[44:45], v[72:73] neg_lo:[0,1] neg_hi:[0,1]
	s_nop 0
	v_pk_fma_f32 v[84:85], v[44:45], 2.0, v[76:77] op_sel_hi:[1,0,1] neg_lo:[0,0,1] neg_hi:[0,0,1]
	ds_read2_b64 v[42:45], v48 offset1:112
	ds_read2_b64 v[70:73], v19 offset0:64 offset1:176
	s_waitcnt lgkmcnt(0)
	s_barrier
	v_pk_mul_f32 v[80:81], v[80:81], v[72:73]
	v_pk_mul_f32 v[78:79], v[78:79], v[70:71]
	v_pk_fma_f32 v[106:107], v[82:83], v[72:73], v[80:81] op_sel:[0,0,1] op_sel_hi:[1,1,0]
	v_pk_fma_f32 v[72:73], v[82:83], v[72:73], v[80:81] op_sel:[0,0,1] op_sel_hi:[1,1,0] neg_lo:[0,0,1] neg_hi:[0,0,1]
	v_pk_fma_f32 v[80:81], v[40:41], v[70:71], v[78:79] op_sel:[0,0,1] op_sel_hi:[1,1,0]
	v_pk_fma_f32 v[40:41], v[40:41], v[70:71], v[78:79] op_sel:[0,0,1] op_sel_hi:[1,1,0] neg_lo:[0,0,1] neg_hi:[0,0,1]
	v_mov_b32_e32 v107, v73
	v_mov_b32_e32 v81, v41
	v_pk_add_f32 v[72:73], v[44:45], v[106:107] neg_lo:[0,1] neg_hi:[0,1]
	v_pk_add_f32 v[40:41], v[42:43], v[80:81] neg_lo:[0,1] neg_hi:[0,1]
	v_pk_fma_f32 v[44:45], v[44:45], 2.0, v[72:73] op_sel_hi:[1,0,1] neg_lo:[0,0,1] neg_hi:[0,0,1]
	v_pk_fma_f32 v[42:43], v[42:43], 2.0, v[40:41] op_sel_hi:[1,0,1] neg_lo:[0,0,1] neg_hi:[0,0,1]
	ds_write2_b64 v130, v[42:43], v[40:41] offset1:32
	ds_write2_b64 v131, v[44:45], v[72:73] offset1:32
	;; [unrolled: 1-line block ×4, first 2 shown]
	s_waitcnt lgkmcnt(0)
	s_barrier
	ds_read2_b64 v[40:43], v111 offset0:96 offset1:208
	ds_read2_b64 v[44:47], v164 offset0:32 offset1:144
	s_waitcnt lgkmcnt(0)
	v_pk_mul_f32 v[70:71], v[92:93], v[46:47]
	s_nop 0
	v_pk_fma_f32 v[72:73], v[32:33], v[46:47], v[70:71] op_sel:[0,0,1] op_sel_hi:[1,1,0]
	v_pk_fma_f32 v[32:33], v[32:33], v[46:47], v[70:71] op_sel:[0,0,1] op_sel_hi:[1,1,0] neg_lo:[0,0,1] neg_hi:[0,0,1]
	v_pk_mul_f32 v[46:47], v[90:91], v[44:45]
	v_mov_b32_e32 v73, v33
	v_pk_fma_f32 v[70:71], v[38:39], v[44:45], v[46:47] op_sel:[0,0,1] op_sel_hi:[1,1,0]
	v_pk_fma_f32 v[38:39], v[38:39], v[44:45], v[46:47] op_sel:[0,0,1] op_sel_hi:[1,1,0] neg_lo:[0,0,1] neg_hi:[0,0,1]
	v_pk_add_f32 v[32:33], v[42:43], v[72:73] neg_lo:[0,1] neg_hi:[0,1]
	v_mov_b32_e32 v71, v39
	v_pk_add_f32 v[70:71], v[40:41], v[70:71] neg_lo:[0,1] neg_hi:[0,1]
	s_nop 0
	v_pk_fma_f32 v[72:73], v[40:41], 2.0, v[70:71] op_sel_hi:[1,0,1] neg_lo:[0,0,1] neg_hi:[0,0,1]
	ds_read2_b64 v[38:41], v48 offset1:112
	ds_read2_b64 v[44:47], v19 offset0:64 offset1:176
	s_waitcnt lgkmcnt(0)
	s_barrier
	v_pk_mul_f32 v[74:75], v[88:89], v[46:47]
	s_nop 0
	v_pk_fma_f32 v[76:77], v[36:37], v[46:47], v[74:75] op_sel:[0,0,1] op_sel_hi:[1,1,0]
	v_pk_fma_f32 v[36:37], v[36:37], v[46:47], v[74:75] op_sel:[0,0,1] op_sel_hi:[1,1,0] neg_lo:[0,0,1] neg_hi:[0,0,1]
	v_pk_mul_f32 v[46:47], v[86:87], v[44:45]
	v_mov_b32_e32 v77, v37
	v_pk_fma_f32 v[74:75], v[24:25], v[44:45], v[46:47] op_sel:[0,0,1] op_sel_hi:[1,1,0]
	v_pk_fma_f32 v[24:25], v[24:25], v[44:45], v[46:47] op_sel:[0,0,1] op_sel_hi:[1,1,0] neg_lo:[0,0,1] neg_hi:[0,0,1]
	v_pk_add_f32 v[36:37], v[40:41], v[76:77] neg_lo:[0,1] neg_hi:[0,1]
	v_mov_b32_e32 v75, v25
	v_pk_add_f32 v[24:25], v[38:39], v[74:75] neg_lo:[0,1] neg_hi:[0,1]
	v_pk_fma_f32 v[40:41], v[40:41], 2.0, v[36:37] op_sel_hi:[1,0,1] neg_lo:[0,0,1] neg_hi:[0,0,1]
	v_pk_fma_f32 v[38:39], v[38:39], 2.0, v[24:25] op_sel_hi:[1,0,1] neg_lo:[0,0,1] neg_hi:[0,0,1]
	ds_write2st64_b64 v134, v[38:39], v[24:25] offset1:1
	ds_write2st64_b64 v136, v[40:41], v[36:37] offset1:1
	;; [unrolled: 1-line block ×3, first 2 shown]
	v_pk_fma_f32 v[24:25], v[42:43], 2.0, v[32:33] op_sel_hi:[1,0,1] neg_lo:[0,0,1] neg_hi:[0,0,1]
	ds_write2st64_b64 v135, v[24:25], v[32:33] offset1:1
	s_waitcnt lgkmcnt(0)
	s_barrier
	ds_read2st64_b64 v[36:39], v48 offset1:2
	ds_read2st64_b64 v[44:47], v48 offset0:4 offset1:6
	ds_read2st64_b64 v[40:43], v48 offset0:8 offset1:10
	ds_read_b64 v[70:71], v48 offset:6144
	s_and_saveexec_b64 s[8:9], s[2:3]
	s_xor_b64 s[2:3], exec, s[8:9]
	s_andn2_saveexec_b64 s[2:3], s[2:3]
	s_cbranch_execz .LBB0_7
; %bb.6:
	v_add_u32_e32 v19, 0x180, v48
	ds_read_b64 v[72:73], v48 offset:7040
	ds_read2st64_b64 v[28:31], v19 offset0:5 offset1:7
	ds_read2_b64 v[32:35], v48 offset0:112 offset1:240
	ds_read2st64_b64 v[24:27], v19 offset0:9 offset1:11
	s_waitcnt lgkmcnt(3)
	v_mov_b32_e32 v98, v72
	s_waitcnt lgkmcnt(2)
	v_mov_b32_e32 v99, v31
	v_mov_b32_e32 v100, v73
	;; [unrolled: 1-line block ×3, first 2 shown]
	s_waitcnt lgkmcnt(1)
	v_mov_b32_e32 v30, v34
	s_waitcnt lgkmcnt(0)
	v_mov_b32_e32 v31, v25
	v_mov_b32_e32 v34, v35
	;; [unrolled: 1-line block ×3, first 2 shown]
.LBB0_7:
	s_or_b64 exec, exec, s[2:3]
	s_waitcnt lgkmcnt(3)
	v_mov_b32_e32 v24, v39
	s_waitcnt lgkmcnt(2)
	v_mov_b32_e32 v25, v46
	;; [unrolled: 2-line block ×3, first 2 shown]
	v_mov_b32_e32 v75, v47
	v_pk_mul_f32 v[16:17], v[16:17], v[24:25]
	v_pk_mul_f32 v[20:21], v[20:21], v[38:39] op_sel:[0,1] op_sel_hi:[1,0]
	v_pk_mul_f32 v[24:25], v[22:23], v[44:45]
	v_mov_b32_e32 v77, v22
	v_mov_b32_e32 v22, v46
	;; [unrolled: 1-line block ×7, first 2 shown]
	v_pk_mul_f32 v[14:15], v[14:15], v[70:71] op_sel:[0,1] op_sel_hi:[1,0]
	v_mov_b32_e32 v23, v45
	v_pk_mul_f32 v[44:45], v[102:103], v[46:47]
	v_mov_b32_e32 v46, v40
	v_mov_b32_e32 v78, v41
	v_mov_b32_e32 v19, v41
	v_pk_mul_f32 v[40:41], v[110:111], v[72:73]
	v_mul_f32_e32 v73, v12, v42
	v_mov_b32_e32 v72, v24
	v_mov_b32_e32 v12, v25
	;; [unrolled: 1-line block ×5, first 2 shown]
	v_pk_add_f32 v[14:15], v[24:25], v[14:15] neg_lo:[0,1] neg_hi:[0,1]
	v_mov_b32_e32 v47, v42
	v_mul_f32_e32 v13, v13, v43
	v_mov_b32_e32 v21, v14
	v_mov_b32_e32 v74, v38
	;; [unrolled: 1-line block ×4, first 2 shown]
	v_pk_mul_f32 v[46:47], v[104:105], v[46:47]
	v_mov_b32_e32 v79, v43
	v_mov_b32_e32 v81, v18
	v_mov_b32_e32 v18, v70
	v_pk_add_f32 v[12:13], v[72:73], v[12:13]
	v_pk_add_f32 v[20:21], v[20:21], v[14:15]
	v_pk_fma_f32 v[38:39], v[38:39], v[22:23], v[44:45]
	v_mov_b32_e32 v20, v13
	v_pk_fma_f32 v[22:23], v[76:77], v[22:23], v[44:45] neg_lo:[0,0,1] neg_hi:[0,0,1]
	v_pk_fma_f32 v[42:43], v[96:97], v[74:75], v[16:17]
	v_pk_fma_f32 v[16:17], v[96:97], v[74:75], v[16:17] neg_lo:[0,0,1] neg_hi:[0,0,1]
	v_pk_fma_f32 v[44:45], v[94:95], v[78:79], v[46:47]
	;; [unrolled: 2-line block ×3, first 2 shown]
	v_pk_fma_f32 v[18:19], v[80:81], v[18:19], v[40:41] neg_lo:[0,0,1] neg_hi:[0,0,1]
	v_pk_add_f32 v[24:25], v[12:13], v[20:21]
	v_mov_b32_e32 v39, v23
	v_mov_b32_e32 v43, v17
	;; [unrolled: 1-line block ×11, first 2 shown]
	v_pk_add_f32 v[14:15], v[40:41], v[14:15] neg_lo:[0,1] neg_hi:[0,1]
	v_pk_add_f32 v[12:13], v[22:23], v[12:13] neg_lo:[0,1] neg_hi:[0,1]
	v_pk_add_f32 v[22:23], v[38:39], v[44:45]
	v_pk_add_f32 v[40:41], v[42:43], v[70:71]
	v_mov_b32_e32 v18, v19
	v_mov_b32_e32 v19, v44
	v_mov_b32_e32 v16, v17
	v_mov_b32_e32 v17, v38
	v_pk_add_f32 v[16:17], v[18:19], v[16:17] neg_lo:[0,1] neg_hi:[0,1]
	v_mov_b32_e32 v25, v23
	v_mov_b32_e32 v20, v40
	;; [unrolled: 1-line block ×6, first 2 shown]
	s_mov_b32 s14, 0xbeae86e6
	v_pk_add_f32 v[18:19], v[24:25], v[20:21]
	v_pk_add_f32 v[38:39], v[38:39], v[42:43] neg_lo:[0,1] neg_hi:[0,1]
	v_pk_add_f32 v[42:43], v[40:41], v[22:23] neg_lo:[0,1] neg_hi:[0,1]
	v_mov_b32_e32 v46, v16
	v_mov_b32_e32 v47, v15
	;; [unrolled: 1-line block ×5, first 2 shown]
	s_mov_b32 s22, 0x3d64c772
	s_mov_b32 s15, 0x3f08b237
	v_pk_add_f32 v[44:45], v[16:17], v[12:13]
	v_pk_add_f32 v[46:47], v[46:47], v[70:71] neg_lo:[0,1] neg_hi:[0,1]
	v_mov_b32_e32 v70, v14
	v_mov_b32_e32 v17, v13
	v_pk_add_f32 v[18:19], v[22:23], v[18:19]
	s_mov_b32 s23, 0x3f4a47b2
	s_mov_b32 s16, s15
	;; [unrolled: 1-line block ×3, first 2 shown]
	v_pk_add_f32 v[16:17], v[70:71], v[16:17] neg_lo:[0,1] neg_hi:[0,1]
	v_pk_add_f32 v[36:37], v[36:37], v[18:19]
	s_mov_b32 s20, 0xbf955555
	v_pk_mul_f32 v[38:39], v[38:39], s[22:23]
	s_mov_b32 s24, s23
	s_mov_b32 s25, s22
	v_pk_mul_f32 v[46:47], v[46:47], s[16:17]
	v_pk_add_f32 v[22:23], v[44:45], v[14:15]
	v_pk_mul_f32 v[40:41], v[42:43], s[24:25]
	s_mov_b32 s2, 0xbee1c552
	v_pk_mul_f32 v[44:45], v[16:17], s[14:15]
	v_pk_fma_f32 v[18:19], v[18:19], s[20:21], v[36:37] op_sel_hi:[1,0,1]
	v_pk_fma_f32 v[42:43], v[42:43], s[24:25], v[38:39]
	v_pk_fma_f32 v[16:17], v[16:17], s[14:15], v[46:47]
	v_pk_add_f32 v[42:43], v[42:43], v[18:19]
	v_pk_fma_f32 v[16:17], v[22:23], s[2:3], v[16:17] op_sel_hi:[1,0,1]
	v_pk_add_f32 v[20:21], v[24:25], v[20:21] neg_lo:[0,1] neg_hi:[0,1]
	v_pk_add_f32 v[12:13], v[12:13], v[14:15] neg_lo:[0,1] neg_hi:[0,1]
	s_mov_b32 s8, 0x3f3bfb3b
	s_mov_b32 s10, 0xbf5ff5aa
	v_mov_b32_e32 v14, v40
	v_mov_b32_e32 v15, v39
	;; [unrolled: 1-line block ×6, first 2 shown]
	v_pk_add_f32 v[70:71], v[42:43], v[16:17] neg_lo:[0,1] neg_hi:[0,1]
	v_pk_add_f32 v[16:17], v[42:43], v[16:17]
	v_pk_fma_f32 v[14:15], v[20:21], s[8:9], v[14:15] op_sel_hi:[1,0,1] neg_lo:[1,0,1] neg_hi:[1,0,1]
	v_pk_fma_f32 v[24:25], v[12:13], s[10:11], v[24:25] op_sel_hi:[1,0,1] neg_lo:[1,0,1] neg_hi:[1,0,1]
	v_pk_fma_f32 v[20:21], v[20:21], s[8:9], v[38:39] op_sel_hi:[1,0,1] neg_lo:[0,0,1] neg_hi:[0,0,1]
	v_pk_fma_f32 v[12:13], v[12:13], s[10:11], v[46:47] op_sel_hi:[1,0,1] neg_lo:[0,0,1] neg_hi:[0,0,1]
	v_mov_b32_e32 v42, v16
	v_mov_b32_e32 v43, v71
	v_pk_add_f32 v[14:15], v[14:15], v[18:19]
	v_pk_fma_f32 v[24:25], v[22:23], s[2:3], v[24:25] op_sel_hi:[1,0,1]
	v_pk_add_f32 v[18:19], v[20:21], v[18:19]
	v_pk_fma_f32 v[12:13], v[22:23], s[2:3], v[12:13] op_sel_hi:[1,0,1]
	ds_write2st64_b64 v48, v[36:37], v[42:43] offset1:2
	v_pk_add_f32 v[36:37], v[14:15], v[24:25] neg_lo:[0,1] neg_hi:[0,1]
	v_pk_add_f32 v[14:15], v[14:15], v[24:25]
	v_pk_add_f32 v[20:21], v[18:19], v[12:13]
	v_pk_add_f32 v[12:13], v[18:19], v[12:13] neg_lo:[0,1] neg_hi:[0,1]
	v_mov_b32_e32 v24, v14
	v_mov_b32_e32 v25, v37
	;; [unrolled: 1-line block ×7, first 2 shown]
	ds_write2st64_b64 v48, v[24:25], v[18:19] offset0:4 offset1:6
	ds_write2st64_b64 v48, v[20:21], v[36:37] offset0:8 offset1:10
	ds_write_b64 v48, v[70:71] offset:6144
	s_and_saveexec_b64 s[18:19], s[0:1]
	s_cbranch_execz .LBB0_9
; %bb.8:
	v_mov_b32_e32 v36, v3
	v_mov_b32_e32 v37, v7
	v_mov_b32_e32 v38, v31
	v_mov_b32_e32 v39, v28
	v_pk_mul_f32 v[36:37], v[36:37], v[38:39]
	v_mov_b32_e32 v39, v8
	v_mov_b32_e32 v45, v9
	v_pk_mul_f32 v[8:9], v[8:9], v[26:27]
	v_mov_b32_e32 v21, v6
	v_mov_b32_e32 v47, v26
	;; [unrolled: 3-line block ×3, first 2 shown]
	v_mov_b32_e32 v43, v27
	v_mov_b32_e32 v27, v6
	;; [unrolled: 1-line block ×3, first 2 shown]
	v_pk_mul_f32 v[8:9], v[8:9], v[98:99]
	v_mov_b32_e32 v14, v5
	v_mov_b32_e32 v15, v3
	v_mov_b32_e32 v16, v10
	v_mov_b32_e32 v18, v11
	v_mov_b32_e32 v19, v1
	v_mov_b32_e32 v44, v1
	v_mov_b32_e32 v46, v99
	v_pk_fma_f32 v[8:9], v[10:11], v[100:101], v[8:9] neg_lo:[0,0,1] neg_hi:[0,0,1]
	v_mov_b32_e32 v10, v5
	v_mov_b32_e32 v12, v4
	;; [unrolled: 1-line block ×3, first 2 shown]
	v_pk_mul_f32 v[14:15], v[14:15], v[34:35]
	v_mov_b32_e32 v17, v0
	v_pk_mul_f32 v[18:19], v[18:19], v[100:101]
	v_mov_b32_e32 v20, v2
	v_mov_b32_e32 v22, v35
	;; [unrolled: 1-line block ×7, first 2 shown]
	v_pk_mul_f32 v[44:45], v[44:45], v[46:47]
	v_pk_mul_f32 v[10:11], v[10:11], v[30:31]
	v_pk_add_f32 v[6:7], v[26:27], v[6:7]
	v_pk_fma_f32 v[4:5], v[4:5], v[34:35], v[10:11] neg_lo:[0,0,1] neg_hi:[0,0,1]
	v_pk_fma_f32 v[28:29], v[16:17], v[98:99], v[18:19]
	v_pk_fma_f32 v[16:17], v[16:17], v[98:99], v[18:19] neg_lo:[0,0,1] neg_hi:[0,0,1]
	v_pk_fma_f32 v[18:19], v[12:13], v[30:31], v[14:15]
	v_pk_fma_f32 v[12:13], v[12:13], v[30:31], v[14:15] neg_lo:[0,0,1] neg_hi:[0,0,1]
	v_pk_fma_f32 v[0:1], v[0:1], v[40:41], v[44:45]
	v_pk_fma_f32 v[14:15], v[38:39], v[42:43], v[44:45] neg_lo:[0,0,1] neg_hi:[0,0,1]
	v_pk_fma_f32 v[2:3], v[2:3], v[22:23], v[36:37]
	v_pk_fma_f32 v[20:21], v[20:21], v[24:25], v[36:37] neg_lo:[0,0,1] neg_hi:[0,0,1]
	v_pk_add_f32 v[10:11], v[8:9], v[4:5]
	v_mov_b32_e32 v26, v7
	v_mov_b32_e32 v29, v17
	;; [unrolled: 1-line block ×7, first 2 shown]
	v_pk_add_f32 v[26:27], v[6:7], v[26:27]
	v_pk_add_f32 v[22:23], v[28:29], v[18:19]
	;; [unrolled: 1-line block ×3, first 2 shown]
	v_pk_add_f32 v[4:5], v[4:5], v[8:9] neg_lo:[0,1] neg_hi:[0,1]
	v_mov_b32_e32 v8, v13
	v_mov_b32_e32 v9, v2
	;; [unrolled: 1-line block ×7, first 2 shown]
	v_pk_add_f32 v[0:1], v[8:9], v[2:3] neg_lo:[0,1] neg_hi:[0,1]
	v_mov_b32_e32 v2, v21
	v_mov_b32_e32 v3, v7
	;; [unrolled: 1-line block ×4, first 2 shown]
	v_pk_add_f32 v[36:37], v[36:37], v[26:27] neg_lo:[0,1] neg_hi:[0,1]
	v_mov_b32_e32 v27, v25
	v_mov_b32_e32 v38, v22
	;; [unrolled: 1-line block ×3, first 2 shown]
	v_pk_add_f32 v[2:3], v[2:3], v[8:9] neg_lo:[0,1] neg_hi:[0,1]
	v_pk_add_f32 v[30:31], v[22:23], v[24:25] neg_lo:[0,1] neg_hi:[0,1]
	v_pk_add_f32 v[10:11], v[26:27], v[38:39]
	v_mov_b32_e32 v25, v23
	v_mov_b32_e32 v12, v0
	;; [unrolled: 1-line block ×5, first 2 shown]
	v_pk_add_f32 v[10:11], v[24:25], v[10:11]
	v_mov_b32_e32 v6, v4
	v_mov_b32_e32 v7, v1
	;; [unrolled: 1-line block ×4, first 2 shown]
	v_pk_add_f32 v[12:13], v[12:13], v[14:15] neg_lo:[0,1] neg_hi:[0,1]
	v_pk_mul_f32 v[36:37], v[36:37], s[22:23]
	v_pk_add_f32 v[22:23], v[32:33], v[10:11]
	v_pk_add_f32 v[6:7], v[6:7], v[8:9] neg_lo:[0,1] neg_hi:[0,1]
	v_pk_mul_f32 v[12:13], v[12:13], s[16:17]
	v_pk_add_f32 v[0:1], v[0:1], v[2:3]
	v_pk_mul_f32 v[34:35], v[30:31], s[24:25]
	v_pk_fma_f32 v[30:31], v[30:31], s[24:25], v[36:37]
	v_pk_fma_f32 v[10:11], v[10:11], s[20:21], v[22:23] op_sel_hi:[1,0,1]
	v_pk_mul_f32 v[8:9], v[6:7], s[14:15]
	v_pk_fma_f32 v[6:7], v[6:7], s[14:15], v[12:13]
	v_pk_add_f32 v[0:1], v[0:1], v[4:5]
	v_pk_add_f32 v[24:25], v[30:31], v[10:11]
	v_pk_fma_f32 v[6:7], v[0:1], s[2:3], v[6:7] op_sel_hi:[1,0,1]
	v_pk_add_f32 v[2:3], v[2:3], v[4:5] neg_lo:[0,1] neg_hi:[0,1]
	v_pk_add_f32 v[14:15], v[24:25], v[6:7] neg_lo:[0,1] neg_hi:[0,1]
	v_pk_add_f32 v[6:7], v[24:25], v[6:7]
	v_mov_b32_e32 v17, v15
	v_mov_b32_e32 v16, v6
	;; [unrolled: 1-line block ×5, first 2 shown]
	ds_write2_b64 v48, v[22:23], v[16:17] offset0:112 offset1:240
	v_mov_b32_e32 v16, v34
	v_mov_b32_e32 v17, v37
	v_pk_add_f32 v[18:19], v[26:27], v[38:39] neg_lo:[0,1] neg_hi:[0,1]
	v_pk_fma_f32 v[4:5], v[2:3], s[10:11], v[4:5] op_sel_hi:[1,0,1] neg_lo:[1,0,1] neg_hi:[1,0,1]
	v_pk_fma_f32 v[2:3], v[2:3], s[10:11], v[12:13] op_sel_hi:[1,0,1] neg_lo:[0,0,1] neg_hi:[0,0,1]
	v_mov_b32_e32 v37, v35
	v_pk_fma_f32 v[16:17], v[18:19], s[8:9], v[16:17] op_sel_hi:[1,0,1] neg_lo:[1,0,1] neg_hi:[1,0,1]
	v_pk_fma_f32 v[4:5], v[0:1], s[2:3], v[4:5] op_sel_hi:[1,0,1]
	v_pk_fma_f32 v[0:1], v[0:1], s[2:3], v[2:3] op_sel_hi:[1,0,1]
	v_pk_fma_f32 v[2:3], v[18:19], s[8:9], v[36:37] op_sel_hi:[1,0,1] neg_lo:[0,0,1] neg_hi:[0,0,1]
	v_pk_add_f32 v[16:17], v[16:17], v[10:11]
	v_pk_add_f32 v[2:3], v[2:3], v[10:11]
	v_pk_add_f32 v[20:21], v[16:17], v[4:5] neg_lo:[0,1] neg_hi:[0,1]
	v_pk_add_f32 v[4:5], v[16:17], v[4:5]
	v_pk_add_f32 v[8:9], v[2:3], v[0:1]
	v_pk_add_f32 v[0:1], v[2:3], v[0:1] neg_lo:[0,1] neg_hi:[0,1]
	v_mov_b32_e32 v16, v4
	v_mov_b32_e32 v17, v21
	;; [unrolled: 1-line block ×4, first 2 shown]
	v_add_u32_e32 v0, 0x180, v48
	v_mov_b32_e32 v9, v1
	v_mov_b32_e32 v21, v5
	;; [unrolled: 1-line block ×3, first 2 shown]
	ds_write2st64_b64 v0, v[16:17], v[2:3] offset0:5 offset1:7
	ds_write2st64_b64 v0, v[8:9], v[20:21] offset0:9 offset1:11
	ds_write_b64 v48, v[14:15] offset:7040
.LBB0_9:
	s_or_b64 exec, exec, s[18:19]
	s_waitcnt lgkmcnt(0)
	s_barrier
	ds_read2_b64 v[0:3], v48 offset1:112
	v_mad_u64_u32 v[10:11], s[0:1], s6, v58, 0
	v_mov_b32_e32 v4, v11
	v_mad_u64_u32 v[4:5], s[0:1], s7, v58, v[4:5]
	v_mov_b32_e32 v11, v4
	s_waitcnt lgkmcnt(0)
	v_mul_f32_e32 v4, v69, v1
	v_fmac_f32_e32 v4, v68, v0
	v_mul_f32_e32 v0, v69, v0
	s_mov_b32 s0, 0x92492492
	v_fma_f32 v0, v68, v1, -v0
	s_mov_b32 s1, 0x3f524924
	v_cvt_f64_f32_e32 v[0:1], v0
	v_cvt_f64_f32_e32 v[4:5], v4
	v_mul_f64 v[0:1], v[0:1], s[0:1]
	v_mul_f64 v[4:5], v[4:5], s[0:1]
	v_cvt_f32_f64_e32 v13, v[0:1]
	v_mad_u64_u32 v[0:1], s[2:3], s4, v50, 0
	v_cvt_f32_f64_e32 v12, v[4:5]
	v_mov_b32_e32 v4, v1
	v_add_u32_e32 v1, 0xc00, v48
	v_mad_u64_u32 v[14:15], s[2:3], s5, v50, v[4:5]
	ds_read2_b64 v[4:7], v1 offset0:64 offset1:176
	v_mov_b32_e32 v8, s12
	v_mov_b32_e32 v9, s13
	;; [unrolled: 1-line block ×3, first 2 shown]
	v_lshl_add_u64 v[8:9], v[10:11], 3, v[8:9]
	v_lshl_add_u64 v[0:1], v[0:1], 3, v[8:9]
	s_waitcnt lgkmcnt(0)
	v_mul_f32_e32 v8, v65, v5
	v_fmac_f32_e32 v8, v64, v4
	v_mul_f32_e32 v4, v65, v4
	v_fma_f32 v4, v64, v5, -v4
	v_cvt_f64_f32_e32 v[8:9], v8
	v_cvt_f64_f32_e32 v[4:5], v4
	global_store_dwordx2 v[0:1], v[12:13], off
	v_mul_f64 v[8:9], v[8:9], s[0:1]
	v_mul_f64 v[4:5], v[4:5], s[0:1]
	v_mov_b32_e32 v12, 0xe00
	v_cvt_f32_f64_e32 v8, v[8:9]
	v_cvt_f32_f64_e32 v9, v[4:5]
	v_mad_u64_u32 v[0:1], s[2:3], s4, v12, v[0:1]
	s_mul_i32 s6, s5, 0xe00
	v_mul_f32_e32 v4, v67, v3
	v_add_u32_e32 v1, s6, v1
	v_fmac_f32_e32 v4, v66, v2
	v_mul_f32_e32 v2, v67, v2
	v_mov_b32_e32 v13, 0xfffff580
	global_store_dwordx2 v[0:1], v[8:9], off
	v_fma_f32 v2, v66, v3, -v2
	v_mad_u64_u32 v[8:9], s[2:3], s4, v13, v[0:1]
	v_mul_f32_e32 v0, v63, v7
	v_cvt_f64_f32_e32 v[4:5], v4
	v_cvt_f64_f32_e32 v[2:3], v2
	s_mul_i32 s2, s5, 0xfffff580
	v_fmac_f32_e32 v0, v62, v6
	v_mul_f64 v[4:5], v[4:5], s[0:1]
	v_mul_f64 v[2:3], v[2:3], s[0:1]
	s_sub_i32 s5, s2, s4
	v_cvt_f64_f32_e32 v[0:1], v0
	v_cvt_f32_f64_e32 v4, v[4:5]
	v_cvt_f32_f64_e32 v5, v[2:3]
	v_add_u32_e32 v9, s5, v9
	v_mul_f64 v[0:1], v[0:1], s[0:1]
	global_store_dwordx2 v[8:9], v[4:5], off
	v_cvt_f32_f64_e32 v4, v[0:1]
	v_mul_f32_e32 v0, v63, v6
	v_fma_f32 v0, v62, v7, -v0
	v_cvt_f64_f32_e32 v[0:1], v0
	v_mul_f64 v[0:1], v[0:1], s[0:1]
	v_cvt_f32_f64_e32 v5, v[0:1]
	v_add_u32_e32 v0, 0x400, v48
	ds_read2_b64 v[0:3], v0 offset0:96 offset1:208
	v_mad_u64_u32 v[8:9], s[2:3], s4, v12, v[8:9]
	v_add_u32_e32 v9, s6, v9
	global_store_dwordx2 v[8:9], v[4:5], off
	s_waitcnt lgkmcnt(0)
	v_mul_f32_e32 v4, v61, v1
	v_fmac_f32_e32 v4, v60, v0
	v_mul_f32_e32 v0, v61, v0
	v_fma_f32 v0, v60, v1, -v0
	v_cvt_f64_f32_e32 v[0:1], v0
	v_cvt_f64_f32_e32 v[4:5], v4
	v_mul_f64 v[0:1], v[0:1], s[0:1]
	v_mul_f64 v[4:5], v[4:5], s[0:1]
	v_cvt_f32_f64_e32 v11, v[0:1]
	v_add_u32_e32 v0, 0x1400, v48
	v_cvt_f32_f64_e32 v10, v[4:5]
	ds_read2_b64 v[4:7], v0 offset0:32 offset1:144
	v_mad_u64_u32 v[0:1], s[2:3], s4, v13, v[8:9]
	v_add_u32_e32 v1, s5, v1
	global_store_dwordx2 v[0:1], v[10:11], off
	s_waitcnt lgkmcnt(0)
	v_mul_f32_e32 v8, v57, v5
	v_fmac_f32_e32 v8, v56, v4
	v_mul_f32_e32 v4, v57, v4
	v_fma_f32 v4, v56, v5, -v4
	v_cvt_f64_f32_e32 v[8:9], v8
	v_cvt_f64_f32_e32 v[4:5], v4
	v_mul_f64 v[8:9], v[8:9], s[0:1]
	v_mul_f64 v[4:5], v[4:5], s[0:1]
	v_cvt_f32_f64_e32 v8, v[8:9]
	v_cvt_f32_f64_e32 v9, v[4:5]
	v_mul_f32_e32 v4, v55, v3
	v_fmac_f32_e32 v4, v54, v2
	v_mul_f32_e32 v2, v55, v2
	v_fma_f32 v2, v54, v3, -v2
	v_cvt_f64_f32_e32 v[4:5], v4
	v_cvt_f64_f32_e32 v[2:3], v2
	v_mul_f64 v[4:5], v[4:5], s[0:1]
	v_mul_f64 v[2:3], v[2:3], s[0:1]
	v_cvt_f32_f64_e32 v4, v[4:5]
	v_cvt_f32_f64_e32 v5, v[2:3]
	v_mul_f32_e32 v2, v53, v7
	v_fmac_f32_e32 v2, v52, v6
	v_mad_u64_u32 v[0:1], s[2:3], s4, v12, v[0:1]
	v_cvt_f64_f32_e32 v[2:3], v2
	v_add_u32_e32 v1, s6, v1
	v_mul_f64 v[2:3], v[2:3], s[0:1]
	global_store_dwordx2 v[0:1], v[8:9], off
	v_mad_u64_u32 v[0:1], s[2:3], s4, v13, v[0:1]
	v_cvt_f32_f64_e32 v2, v[2:3]
	v_mul_f32_e32 v3, v53, v6
	v_add_u32_e32 v1, s5, v1
	v_fma_f32 v3, v52, v7, -v3
	global_store_dwordx2 v[0:1], v[4:5], off
	v_cvt_f64_f32_e32 v[4:5], v3
	v_mul_f64 v[4:5], v[4:5], s[0:1]
	v_mad_u64_u32 v[0:1], s[0:1], s4, v12, v[0:1]
	v_cvt_f32_f64_e32 v3, v[4:5]
	v_add_u32_e32 v1, s6, v1
	global_store_dwordx2 v[0:1], v[2:3], off
.LBB0_10:
	s_endpgm
	.section	.rodata,"a",@progbits
	.p2align	6, 0x0
	.amdhsa_kernel bluestein_single_fwd_len896_dim1_sp_op_CI_CI
		.amdhsa_group_segment_fixed_size 7168
		.amdhsa_private_segment_fixed_size 0
		.amdhsa_kernarg_size 104
		.amdhsa_user_sgpr_count 2
		.amdhsa_user_sgpr_dispatch_ptr 0
		.amdhsa_user_sgpr_queue_ptr 0
		.amdhsa_user_sgpr_kernarg_segment_ptr 1
		.amdhsa_user_sgpr_dispatch_id 0
		.amdhsa_user_sgpr_kernarg_preload_length 0
		.amdhsa_user_sgpr_kernarg_preload_offset 0
		.amdhsa_user_sgpr_private_segment_size 0
		.amdhsa_uses_dynamic_stack 0
		.amdhsa_enable_private_segment 0
		.amdhsa_system_sgpr_workgroup_id_x 1
		.amdhsa_system_sgpr_workgroup_id_y 0
		.amdhsa_system_sgpr_workgroup_id_z 0
		.amdhsa_system_sgpr_workgroup_info 0
		.amdhsa_system_vgpr_workitem_id 0
		.amdhsa_next_free_vgpr 165
		.amdhsa_next_free_sgpr 28
		.amdhsa_accum_offset 168
		.amdhsa_reserve_vcc 1
		.amdhsa_float_round_mode_32 0
		.amdhsa_float_round_mode_16_64 0
		.amdhsa_float_denorm_mode_32 3
		.amdhsa_float_denorm_mode_16_64 3
		.amdhsa_dx10_clamp 1
		.amdhsa_ieee_mode 1
		.amdhsa_fp16_overflow 0
		.amdhsa_tg_split 0
		.amdhsa_exception_fp_ieee_invalid_op 0
		.amdhsa_exception_fp_denorm_src 0
		.amdhsa_exception_fp_ieee_div_zero 0
		.amdhsa_exception_fp_ieee_overflow 0
		.amdhsa_exception_fp_ieee_underflow 0
		.amdhsa_exception_fp_ieee_inexact 0
		.amdhsa_exception_int_div_zero 0
	.end_amdhsa_kernel
	.text
.Lfunc_end0:
	.size	bluestein_single_fwd_len896_dim1_sp_op_CI_CI, .Lfunc_end0-bluestein_single_fwd_len896_dim1_sp_op_CI_CI
                                        ; -- End function
	.section	.AMDGPU.csdata,"",@progbits
; Kernel info:
; codeLenInByte = 9876
; NumSgprs: 34
; NumVgprs: 165
; NumAgprs: 0
; TotalNumVgprs: 165
; ScratchSize: 0
; MemoryBound: 0
; FloatMode: 240
; IeeeMode: 1
; LDSByteSize: 7168 bytes/workgroup (compile time only)
; SGPRBlocks: 4
; VGPRBlocks: 20
; NumSGPRsForWavesPerEU: 34
; NumVGPRsForWavesPerEU: 165
; AccumOffset: 168
; Occupancy: 3
; WaveLimiterHint : 1
; COMPUTE_PGM_RSRC2:SCRATCH_EN: 0
; COMPUTE_PGM_RSRC2:USER_SGPR: 2
; COMPUTE_PGM_RSRC2:TRAP_HANDLER: 0
; COMPUTE_PGM_RSRC2:TGID_X_EN: 1
; COMPUTE_PGM_RSRC2:TGID_Y_EN: 0
; COMPUTE_PGM_RSRC2:TGID_Z_EN: 0
; COMPUTE_PGM_RSRC2:TIDIG_COMP_CNT: 0
; COMPUTE_PGM_RSRC3_GFX90A:ACCUM_OFFSET: 41
; COMPUTE_PGM_RSRC3_GFX90A:TG_SPLIT: 0
	.text
	.p2alignl 6, 3212836864
	.fill 256, 4, 3212836864
	.type	__hip_cuid_dd76eab0bd1fa5e3,@object ; @__hip_cuid_dd76eab0bd1fa5e3
	.section	.bss,"aw",@nobits
	.globl	__hip_cuid_dd76eab0bd1fa5e3
__hip_cuid_dd76eab0bd1fa5e3:
	.byte	0                               ; 0x0
	.size	__hip_cuid_dd76eab0bd1fa5e3, 1

	.ident	"AMD clang version 19.0.0git (https://github.com/RadeonOpenCompute/llvm-project roc-6.4.0 25133 c7fe45cf4b819c5991fe208aaa96edf142730f1d)"
	.section	".note.GNU-stack","",@progbits
	.addrsig
	.addrsig_sym __hip_cuid_dd76eab0bd1fa5e3
	.amdgpu_metadata
---
amdhsa.kernels:
  - .agpr_count:     0
    .args:
      - .actual_access:  read_only
        .address_space:  global
        .offset:         0
        .size:           8
        .value_kind:     global_buffer
      - .actual_access:  read_only
        .address_space:  global
        .offset:         8
        .size:           8
        .value_kind:     global_buffer
      - .actual_access:  read_only
        .address_space:  global
        .offset:         16
        .size:           8
        .value_kind:     global_buffer
      - .actual_access:  read_only
        .address_space:  global
        .offset:         24
        .size:           8
        .value_kind:     global_buffer
      - .actual_access:  read_only
        .address_space:  global
        .offset:         32
        .size:           8
        .value_kind:     global_buffer
      - .offset:         40
        .size:           8
        .value_kind:     by_value
      - .address_space:  global
        .offset:         48
        .size:           8
        .value_kind:     global_buffer
      - .address_space:  global
        .offset:         56
        .size:           8
        .value_kind:     global_buffer
      - .address_space:  global
        .offset:         64
        .size:           8
        .value_kind:     global_buffer
      - .address_space:  global
        .offset:         72
        .size:           8
        .value_kind:     global_buffer
      - .offset:         80
        .size:           4
        .value_kind:     by_value
      - .address_space:  global
        .offset:         88
        .size:           8
        .value_kind:     global_buffer
      - .address_space:  global
        .offset:         96
        .size:           8
        .value_kind:     global_buffer
    .group_segment_fixed_size: 7168
    .kernarg_segment_align: 8
    .kernarg_segment_size: 104
    .language:       OpenCL C
    .language_version:
      - 2
      - 0
    .max_flat_workgroup_size: 112
    .name:           bluestein_single_fwd_len896_dim1_sp_op_CI_CI
    .private_segment_fixed_size: 0
    .sgpr_count:     34
    .sgpr_spill_count: 0
    .symbol:         bluestein_single_fwd_len896_dim1_sp_op_CI_CI.kd
    .uniform_work_group_size: 1
    .uses_dynamic_stack: false
    .vgpr_count:     165
    .vgpr_spill_count: 0
    .wavefront_size: 64
amdhsa.target:   amdgcn-amd-amdhsa--gfx950
amdhsa.version:
  - 1
  - 2
...

	.end_amdgpu_metadata
